;; amdgpu-corpus repo=ROCm/rocFFT kind=compiled arch=gfx906 opt=O3
	.text
	.amdgcn_target "amdgcn-amd-amdhsa--gfx906"
	.amdhsa_code_object_version 6
	.protected	bluestein_single_fwd_len1848_dim1_half_op_CI_CI ; -- Begin function bluestein_single_fwd_len1848_dim1_half_op_CI_CI
	.globl	bluestein_single_fwd_len1848_dim1_half_op_CI_CI
	.p2align	8
	.type	bluestein_single_fwd_len1848_dim1_half_op_CI_CI,@function
bluestein_single_fwd_len1848_dim1_half_op_CI_CI: ; @bluestein_single_fwd_len1848_dim1_half_op_CI_CI
; %bb.0:
	s_load_dwordx4 s[12:15], s[4:5], 0x28
	v_mul_u32_u24_e32 v1, 0x11c, v0
	v_add_u32_sdwa v21, s6, v1 dst_sel:DWORD dst_unused:UNUSED_PAD src0_sel:DWORD src1_sel:WORD_1
	v_mov_b32_e32 v22, 0
	s_waitcnt lgkmcnt(0)
	v_cmp_gt_u64_e32 vcc, s[12:13], v[21:22]
	s_and_saveexec_b64 s[0:1], vcc
	s_cbranch_execz .LBB0_31
; %bb.1:
	s_load_dwordx4 s[0:3], s[4:5], 0x18
	s_load_dwordx2 s[16:17], s[4:5], 0x0
	s_waitcnt lgkmcnt(0)
	s_load_dwordx4 s[8:11], s[0:1], 0x0
	s_movk_i32 s0, 0xe7
	v_mul_lo_u16_sdwa v1, v1, s0 dst_sel:DWORD dst_unused:UNUSED_PAD src0_sel:WORD_1 src1_sel:DWORD
	v_sub_u16_e32 v43, v0, v1
	v_lshlrev_b32_e32 v38, 2, v43
	s_waitcnt lgkmcnt(0)
	v_mad_u64_u32 v[0:1], s[0:1], s10, v21, 0
	v_mad_u64_u32 v[2:3], s[0:1], s8, v43, 0
	v_add_co_u32_e64 v19, s[6:7], s16, v38
	v_mad_u64_u32 v[4:5], s[0:1], s11, v21, v[1:2]
	global_load_dword v45, v38, s[16:17]
	global_load_dword v44, v38, s[16:17] offset:2464
	v_mad_u64_u32 v[5:6], s[0:1], s9, v43, v[3:4]
	v_mov_b32_e32 v1, v4
	v_lshlrev_b64 v[0:1], 2, v[0:1]
	v_mov_b32_e32 v6, s15
	v_mov_b32_e32 v3, v5
	v_add_co_u32_e32 v4, vcc, s14, v0
	v_addc_co_u32_e32 v5, vcc, v6, v1, vcc
	v_lshlrev_b64 v[0:1], 2, v[2:3]
	s_mul_i32 s0, s9, 0x268
	s_mul_hi_u32 s1, s8, 0x268
	v_add_co_u32_e32 v0, vcc, v4, v0
	v_mov_b32_e32 v2, s17
	s_add_i32 s1, s1, s0
	s_mul_i32 s0, s8, 0x268
	v_addc_co_u32_e32 v1, vcc, v5, v1, vcc
	v_addc_co_u32_e64 v20, vcc, 0, v2, s[6:7]
	s_lshl_b64 s[14:15], s[0:1], 2
	v_mov_b32_e32 v6, s15
	v_add_co_u32_e32 v2, vcc, s14, v0
	v_addc_co_u32_e32 v3, vcc, v1, v6, vcc
	v_add_co_u32_e32 v4, vcc, s14, v2
	v_addc_co_u32_e32 v5, vcc, v3, v6, vcc
	s_movk_i32 s0, 0x1000
	s_mul_hi_u32 s1, s8, 0xfffffc17
	global_load_dword v7, v[0:1], off
	global_load_dword v8, v[2:3], off
	;; [unrolled: 1-line block ×3, first 2 shown]
	v_add_co_u32_e32 v0, vcc, s0, v19
	s_mul_i32 s0, s9, 0xfffffc17
	s_sub_i32 s1, s1, s8
	s_add_i32 s1, s1, s0
	s_mul_i32 s0, s8, 0xfffffc17
	v_addc_co_u32_e32 v1, vcc, 0, v20, vcc
	s_lshl_b64 s[18:19], s[0:1], 2
	global_load_dword v42, v[0:1], off offset:832
	v_mov_b32_e32 v3, s19
	v_add_co_u32_e32 v2, vcc, s18, v4
	v_addc_co_u32_e32 v3, vcc, v5, v3, vcc
	global_load_dword v4, v[2:3], off
	global_load_dword v40, v38, s[16:17] offset:3388
	global_load_dword v41, v38, s[16:17] offset:924
	v_add_co_u32_e32 v2, vcc, s14, v2
	v_addc_co_u32_e32 v3, vcc, v3, v6, vcc
	global_load_dword v5, v[2:3], off
	v_add_co_u32_e32 v2, vcc, s14, v2
	v_addc_co_u32_e32 v3, vcc, v3, v6, vcc
	global_load_dword v6, v[2:3], off
	global_load_dword v39, v[0:1], off offset:1756
	s_load_dwordx2 s[12:13], s[4:5], 0x38
	s_load_dwordx4 s[8:11], s[2:3], 0x0
	s_movk_i32 s0, 0x9a
	v_cmp_gt_u16_e64 s[0:1], s0, v43
	s_waitcnt vmcnt(9)
	v_lshrrev_b32_e32 v10, 16, v7
	v_mul_f16_sdwa v11, v45, v7 dst_sel:DWORD dst_unused:UNUSED_PAD src0_sel:WORD_1 src1_sel:DWORD
	v_mul_f16_sdwa v12, v45, v10 dst_sel:DWORD dst_unused:UNUSED_PAD src0_sel:WORD_1 src1_sel:DWORD
	v_fma_f16 v10, v45, v10, -v11
	s_waitcnt vmcnt(8)
	v_lshrrev_b32_e32 v11, 16, v8
	v_mul_f16_sdwa v13, v44, v8 dst_sel:DWORD dst_unused:UNUSED_PAD src0_sel:WORD_1 src1_sel:DWORD
	v_fma_f16 v7, v45, v7, v12
	v_mul_f16_sdwa v12, v44, v11 dst_sel:DWORD dst_unused:UNUSED_PAD src0_sel:WORD_1 src1_sel:DWORD
	v_fma_f16 v11, v44, v11, -v13
	s_waitcnt vmcnt(7)
	v_lshrrev_b32_e32 v13, 16, v9
	v_pack_b32_f16 v7, v7, v10
	v_fma_f16 v8, v44, v8, v12
	s_waitcnt vmcnt(6)
	v_mul_f16_sdwa v14, v42, v9 dst_sel:DWORD dst_unused:UNUSED_PAD src0_sel:WORD_1 src1_sel:DWORD
	v_mul_f16_sdwa v10, v42, v13 dst_sel:DWORD dst_unused:UNUSED_PAD src0_sel:WORD_1 src1_sel:DWORD
	v_fma_f16 v12, v42, v13, -v14
	v_pack_b32_f16 v8, v8, v11
	s_waitcnt vmcnt(5)
	v_lshrrev_b32_e32 v13, 16, v4
	v_fma_f16 v9, v42, v9, v10
	s_waitcnt vmcnt(3)
	v_mul_f16_sdwa v14, v41, v4 dst_sel:DWORD dst_unused:UNUSED_PAD src0_sel:WORD_1 src1_sel:DWORD
	v_mul_f16_sdwa v10, v41, v13 dst_sel:DWORD dst_unused:UNUSED_PAD src0_sel:WORD_1 src1_sel:DWORD
	ds_write_b32 v38, v8 offset:2464
	v_pack_b32_f16 v8, v9, v12
	v_fma_f16 v4, v41, v4, v10
	ds_write_b32 v38, v8 offset:4928
	v_fma_f16 v8, v41, v13, -v14
	v_pack_b32_f16 v4, v4, v8
	ds_write2_b32 v38, v7, v4 offset1:231
	s_waitcnt vmcnt(2)
	v_lshrrev_b32_e32 v4, 16, v5
	v_mul_f16_sdwa v7, v40, v4 dst_sel:DWORD dst_unused:UNUSED_PAD src0_sel:WORD_1 src1_sel:DWORD
	v_fma_f16 v7, v40, v5, v7
	v_mul_f16_sdwa v5, v40, v5 dst_sel:DWORD dst_unused:UNUSED_PAD src0_sel:WORD_1 src1_sel:DWORD
	v_fma_f16 v4, v40, v4, -v5
	v_pack_b32_f16 v4, v7, v4
	ds_write_b32 v38, v4 offset:3388
	s_waitcnt vmcnt(1)
	v_lshrrev_b32_e32 v4, 16, v6
	s_waitcnt vmcnt(0)
	v_mul_f16_sdwa v5, v39, v4 dst_sel:DWORD dst_unused:UNUSED_PAD src0_sel:WORD_1 src1_sel:DWORD
	v_fma_f16 v5, v39, v6, v5
	v_mul_f16_sdwa v6, v39, v6 dst_sel:DWORD dst_unused:UNUSED_PAD src0_sel:WORD_1 src1_sel:DWORD
	v_fma_f16 v4, v39, v4, -v6
	v_pack_b32_f16 v4, v5, v4
	ds_write_b32 v38, v4 offset:5852
	s_and_saveexec_b64 s[2:3], s[0:1]
	s_cbranch_execz .LBB0_3
; %bb.2:
	v_mov_b32_e32 v4, s19
	v_add_co_u32_e32 v2, vcc, s18, v2
	v_addc_co_u32_e32 v3, vcc, v3, v4, vcc
	global_load_dword v4, v[2:3], off
	global_load_dword v5, v[19:20], off offset:1848
	v_mov_b32_e32 v6, s15
	v_add_co_u32_e32 v2, vcc, s14, v2
	v_addc_co_u32_e32 v3, vcc, v3, v6, vcc
	global_load_dword v7, v[2:3], off
	global_load_dword v8, v[0:1], off offset:216
	v_add_co_u32_e32 v2, vcc, s14, v2
	v_addc_co_u32_e32 v3, vcc, v3, v6, vcc
	global_load_dword v6, v[2:3], off
	global_load_dword v9, v[0:1], off offset:2680
	s_waitcnt vmcnt(5)
	v_lshrrev_b32_e32 v0, 16, v4
	s_waitcnt vmcnt(4)
	v_mul_f16_sdwa v1, v5, v4 dst_sel:DWORD dst_unused:UNUSED_PAD src0_sel:WORD_1 src1_sel:DWORD
	v_mul_f16_sdwa v2, v5, v0 dst_sel:DWORD dst_unused:UNUSED_PAD src0_sel:WORD_1 src1_sel:DWORD
	v_fma_f16 v0, v5, v0, -v1
	v_fma_f16 v2, v5, v4, v2
	v_pack_b32_f16 v0, v2, v0
	s_waitcnt vmcnt(3)
	v_lshrrev_b32_e32 v1, 16, v7
	s_waitcnt vmcnt(2)
	v_mul_f16_sdwa v3, v8, v7 dst_sel:DWORD dst_unused:UNUSED_PAD src0_sel:WORD_1 src1_sel:DWORD
	v_mul_f16_sdwa v4, v8, v1 dst_sel:DWORD dst_unused:UNUSED_PAD src0_sel:WORD_1 src1_sel:DWORD
	v_fma_f16 v1, v8, v1, -v3
	v_fma_f16 v2, v8, v7, v4
	s_waitcnt vmcnt(1)
	v_lshrrev_b32_e32 v3, 16, v6
	s_waitcnt vmcnt(0)
	v_mul_f16_sdwa v5, v9, v6 dst_sel:DWORD dst_unused:UNUSED_PAD src0_sel:WORD_1 src1_sel:DWORD
	v_mul_f16_sdwa v4, v9, v3 dst_sel:DWORD dst_unused:UNUSED_PAD src0_sel:WORD_1 src1_sel:DWORD
	v_fma_f16 v3, v9, v3, -v5
	ds_write_b32 v38, v0 offset:1848
	v_pack_b32_f16 v0, v2, v1
	v_fma_f16 v1, v9, v6, v4
	ds_write_b32 v38, v0 offset:4312
	v_pack_b32_f16 v0, v1, v3
	ds_write_b32 v38, v0 offset:6776
.LBB0_3:
	s_or_b64 exec, exec, s[2:3]
	v_add_u32_e32 v2, 0x980, v38
	v_add_u32_e32 v4, 0x1300, v38
	s_waitcnt lgkmcnt(0)
	s_barrier
	ds_read2_b32 v[0:1], v38 offset1:231
	ds_read2_b32 v[2:3], v2 offset0:8 offset1:239
	ds_read2_b32 v[4:5], v4 offset0:16 offset1:247
                                        ; implicit-def: $vgpr6
                                        ; implicit-def: $vgpr7
                                        ; implicit-def: $vgpr10
	s_and_saveexec_b64 s[2:3], s[0:1]
	s_cbranch_execz .LBB0_5
; %bb.4:
	ds_read_b32 v10, v38 offset:1848
	ds_read_b32 v7, v38 offset:4312
	ds_read_b32 v6, v38 offset:6776
.LBB0_5:
	s_or_b64 exec, exec, s[2:3]
	s_movk_i32 s2, 0x1ce
	v_add_co_u32_e32 v17, vcc, s2, v43
	s_waitcnt lgkmcnt(1)
	v_pk_add_f16 v8, v0, v2
	s_waitcnt lgkmcnt(0)
	v_pk_add_f16 v9, v2, v4
	v_pk_add_f16 v2, v2, v4 neg_lo:[0,1] neg_hi:[0,1]
	s_movk_i32 s2, 0x3aee
	v_pk_fma_f16 v0, v9, 0.5, v0 op_sel_hi:[1,0,1] neg_lo:[1,0,0] neg_hi:[1,0,0]
	v_pk_mul_f16 v2, v2, s2 op_sel_hi:[1,0]
	v_pk_add_f16 v9, v0, v2 op_sel:[0,1] op_sel_hi:[1,0]
	v_pk_add_f16 v16, v0, v2 op_sel:[0,1] op_sel_hi:[1,0] neg_lo:[0,1] neg_hi:[0,1]
	v_pk_add_f16 v0, v1, v3
	v_pk_add_f16 v11, v0, v5
	v_pk_add_f16 v0, v3, v5
	v_pk_fma_f16 v0, v0, 0.5, v1 op_sel_hi:[1,0,1] neg_lo:[1,0,0] neg_hi:[1,0,0]
	v_pk_add_f16 v1, v3, v5 neg_lo:[0,1] neg_hi:[0,1]
	v_pk_mul_f16 v1, v1, s2 op_sel_hi:[1,0]
	v_pk_add_f16 v12, v0, v1 op_sel:[0,1] op_sel_hi:[1,0]
	v_pk_add_f16 v13, v0, v1 op_sel:[0,1] op_sel_hi:[1,0] neg_lo:[0,1] neg_hi:[0,1]
	v_pk_add_f16 v0, v7, v10
	s_load_dwordx2 s[14:15], s[4:5], 0x8
	v_pk_add_f16 v14, v6, v0
	v_pk_add_f16 v0, v6, v7
	v_pk_add_f16 v1, v7, v6 neg_lo:[0,1] neg_hi:[0,1]
	v_pk_fma_f16 v0, v0, 0.5, v10 op_sel_hi:[1,0,1] neg_lo:[1,0,0] neg_hi:[1,0,0]
	v_pk_mul_f16 v1, v1, s2 op_sel_hi:[1,0]
	v_mul_u32_u24_e32 v18, 3, v43
	s_mov_b32 s4, 0xffff
	v_add_co_u32_e32 v24, vcc, 0xe7, v43
	v_pk_add_f16 v15, v0, v1 op_sel:[0,1] op_sel_hi:[1,0]
	v_pk_add_f16 v27, v0, v1 op_sel:[0,1] op_sel_hi:[1,0] neg_lo:[0,1] neg_hi:[0,1]
	v_lshlrev_b32_e32 v48, 2, v18
	v_bfi_b32 v0, s4, v16, v9
	v_bfi_b32 v1, s4, v9, v16
	s_waitcnt lgkmcnt(0)
	s_barrier
	ds_write2_b32 v48, v1, v0 offset0:1 offset1:2
	v_mul_u32_u24_e32 v0, 3, v24
	v_pk_add_f16 v8, v8, v4
	v_lshrrev_b32_e32 v25, 16, v15
	v_lshlrev_b32_e32 v50, 2, v0
	v_bfi_b32 v0, s4, v13, v12
	v_bfi_b32 v1, s4, v12, v13
	v_mul_u32_u24_e32 v49, 3, v17
	ds_write_b32 v48, v8
	ds_write_b32 v50, v11
	ds_write2_b32 v50, v1, v0 offset0:1 offset1:2
	s_and_saveexec_b64 s[2:3], s[0:1]
	s_cbranch_execz .LBB0_7
; %bb.6:
	v_bfi_b32 v1, s4, v15, v27
	s_mov_b32 s4, 0x5040100
	v_lshlrev_b32_e32 v0, 2, v49
	v_perm_b32 v2, v25, v27, s4
	ds_write_b32 v0, v14
	ds_write2_b32 v0, v1, v2 offset0:1 offset1:2
.LBB0_7:
	s_or_b64 exec, exec, s[2:3]
	s_movk_i32 s2, 0xa8
	v_lshrrev_b32_e32 v28, 16, v9
	v_lshrrev_b32_e32 v29, 16, v12
	v_cmp_gt_u16_e64 s[2:3], s2, v43
	s_waitcnt lgkmcnt(0)
	s_barrier
	s_waitcnt lgkmcnt(0)
                                        ; implicit-def: $vgpr30
                                        ; implicit-def: $vgpr31
                                        ; implicit-def: $vgpr17
                                        ; implicit-def: $vgpr32
	s_and_saveexec_b64 s[4:5], s[2:3]
	s_cbranch_execz .LBB0_9
; %bb.8:
	v_add_u32_e32 v0, 0x400, v38
	ds_read2_b32 v[10:11], v0 offset0:80 offset1:248
	v_add_u32_e32 v0, 0xa00, v38
	ds_read2_b32 v[12:13], v0 offset0:32 offset1:200
	ds_read2_b32 v[8:9], v38 offset1:168
	v_add_u32_e32 v0, 0x1400, v38
	ds_read2_b32 v[16:17], v0 offset0:64 offset1:232
	v_add_u32_e32 v0, 0xf00, v38
	ds_read_b32 v30, v38 offset:6720
	ds_read2_b32 v[14:15], v0 offset0:48 offset1:216
	s_mov_b32 s16, 0xffff
	s_waitcnt lgkmcnt(5)
	v_lshrrev_b32_e32 v28, 16, v10
	s_waitcnt lgkmcnt(4)
	v_lshrrev_b32_e32 v29, 16, v13
	s_waitcnt lgkmcnt(2)
	v_lshrrev_b32_e32 v25, 16, v16
	v_lshrrev_b32_e32 v32, 16, v17
	s_waitcnt lgkmcnt(1)
	v_lshrrev_b32_e32 v31, 16, v30
	s_waitcnt lgkmcnt(0)
	v_bfi_b32 v27, s16, v16, v15
	v_bfi_b32 v13, s16, v13, v12
	;; [unrolled: 1-line block ×3, first 2 shown]
.LBB0_9:
	s_or_b64 exec, exec, s[4:5]
	s_movk_i32 s4, 0xab
	v_mul_lo_u16_sdwa v0, v43, s4 dst_sel:DWORD dst_unused:UNUSED_PAD src0_sel:BYTE_0 src1_sel:DWORD
	v_lshrrev_b16_e32 v47, 9, v0
	v_mul_lo_u16_e32 v0, 3, v47
	v_sub_u16_e32 v0, v43, v0
	v_and_b32_e32 v46, 0xff, v0
	v_mul_u32_u24_e32 v0, 10, v46
	v_lshlrev_b32_e32 v10, 2, v0
	global_load_dwordx4 v[0:3], v10, s[14:15]
	global_load_dwordx4 v[4:7], v10, s[14:15] offset:16
	global_load_dwordx2 v[22:23], v10, s[14:15] offset:32
	v_lshrrev_b32_e32 v10, 16, v11
	v_lshrrev_b32_e32 v55, 16, v16
	;; [unrolled: 1-line block ×5, first 2 shown]
	s_movk_i32 s18, 0x3abb
	s_movk_i32 s16, 0x36a6
	s_mov_b32 s19, 0xb93d
	s_mov_b32 s20, 0xb08e
	;; [unrolled: 1-line block ×7, first 2 shown]
	s_movk_i32 s30, 0x3482
	s_movk_i32 s28, 0x3beb
	;; [unrolled: 1-line block ×3, first 2 shown]
	s_mov_b32 s26, 0xb482
	s_movk_i32 s25, 0x3853
	v_mul_u32_u24_e32 v47, 33, v47
	s_waitcnt vmcnt(0)
	s_barrier
	v_mul_f16_sdwa v26, v10, v2 dst_sel:DWORD dst_unused:UNUSED_PAD src0_sel:DWORD src1_sel:WORD_1
	v_mul_f16_sdwa v51, v11, v2 dst_sel:DWORD dst_unused:UNUSED_PAD src0_sel:DWORD src1_sel:WORD_1
	;; [unrolled: 1-line block ×20, first 2 shown]
	v_fma_f16 v36, v11, v2, -v26
	v_fma_f16 v10, v10, v2, v51
	v_fma_f16 v11, v33, v3, v54
	v_fma_f16 v51, v13, v4, -v61
	v_fma_f16 v13, v52, v5, v57
	v_fma_f16 v52, v27, v7, -v63
	v_fma_f16 v54, v30, v23, -v65
	v_fma_f16 v27, v31, v23, v66
	v_fma_f16 v55, v55, v0, v69
	v_fma_f16 v9, v9, v0, -v70
	v_fma_f16 v37, v12, v3, -v34
	;; [unrolled: 1-line block ×5, first 2 shown]
	v_fma_f16 v14, v53, v6, v58
	v_fma_f16 v15, v25, v7, v64
	;; [unrolled: 1-line block ×4, first 2 shown]
	v_fma_f16 v56, v16, v1, -v68
	v_sub_f16_e32 v89, v55, v27
	v_sub_f16_e32 v85, v9, v54
	v_fma_f16 v12, v29, v4, v62
	v_add_f16_e32 v73, v9, v54
	v_sub_f16_e32 v88, v53, v25
	v_add_f16_e32 v97, v55, v27
	v_sub_f16_e32 v83, v56, v26
	v_mul_f16_e32 v58, 0xb853, v89
	v_mul_f16_e32 v60, 0xb853, v85
	;; [unrolled: 1-line block ×3, first 2 shown]
	v_add_f16_e32 v69, v56, v26
	v_add_f16_e32 v96, v53, v25
	v_mul_f16_e32 v57, 0xbb47, v88
	v_mul_f16_e32 v59, 0xbb47, v83
	;; [unrolled: 1-line block ×4, first 2 shown]
	v_fma_f16 v16, v73, s18, v58
	v_fma_f16 v28, v97, s18, -v60
	v_fma_f16 v30, v73, s16, v62
	v_mul_f16_e32 v63, 0xba0c, v83
	v_fma_f16 v17, v69, s16, v57
	v_fma_f16 v29, v96, s16, -v59
	v_fma_f16 v31, v69, s19, v61
	v_fma_f16 v32, v97, s16, -v64
	v_add_f16_e32 v16, v8, v16
	v_add_f16_sdwa v28, v8, v28 dst_sel:DWORD dst_unused:UNUSED_PAD src0_sel:WORD_1 src1_sel:DWORD
	v_add_f16_e32 v30, v8, v30
	v_mul_f16_e32 v71, 0xbbeb, v85
	v_fma_f16 v33, v96, s19, -v63
	v_add_f16_sdwa v32, v8, v32 dst_sel:DWORD dst_unused:UNUSED_PAD src0_sel:WORD_1 src1_sel:DWORD
	v_add_f16_e32 v16, v17, v16
	v_add_f16_e32 v17, v29, v28
	;; [unrolled: 1-line block ×3, first 2 shown]
	v_fma_f16 v31, v97, s20, -v71
	v_mul_f16_e32 v72, 0x3482, v83
	v_add_f16_e32 v29, v33, v32
	v_add_f16_sdwa v31, v8, v31 dst_sel:DWORD dst_unused:UNUSED_PAD src0_sel:WORD_1 src1_sel:DWORD
	v_fma_f16 v32, v96, s21, -v72
	v_mul_f16_e32 v76, 0xba0c, v89
	v_mul_f16_e32 v65, 0xbbeb, v89
	v_add_f16_e32 v31, v32, v31
	v_fma_f16 v32, v73, s19, v76
	v_mul_f16_e32 v77, 0x3beb, v88
	v_fma_f16 v66, v73, s20, v65
	v_mul_f16_e32 v67, 0x3482, v88
	v_add_f16_e32 v32, v8, v32
	v_fma_f16 v33, v69, s20, v77
	v_mul_f16_e32 v81, 0xba0c, v85
	v_add_f16_e32 v66, v8, v66
	v_fma_f16 v30, v69, s21, v67
	v_add_f16_e32 v32, v33, v32
	v_fma_f16 v33, v97, s19, -v81
	v_mul_f16_e32 v82, 0x3beb, v83
	v_add_f16_e32 v30, v30, v66
	v_add_f16_sdwa v33, v8, v33 dst_sel:DWORD dst_unused:UNUSED_PAD src0_sel:WORD_1 src1_sel:DWORD
	v_fma_f16 v66, v96, s20, -v82
	v_sub_f16_e32 v108, v10, v15
	v_add_f16_e32 v33, v66, v33
	v_add_f16_e32 v90, v36, v52
	v_mul_f16_e32 v66, 0xbbeb, v108
	v_fma_f16 v68, v90, s20, v66
	v_sub_f16_e32 v102, v36, v52
	v_add_f16_e32 v16, v68, v16
	v_add_f16_e32 v103, v10, v15
	v_mul_f16_e32 v68, 0xbbeb, v102
	v_fma_f16 v70, v103, s20, -v68
	v_add_f16_e32 v17, v70, v17
	v_mul_f16_e32 v70, 0x3482, v108
	v_fma_f16 v74, v90, s21, v70
	v_mul_f16_e32 v75, 0x3482, v102
	v_add_f16_e32 v28, v74, v28
	v_fma_f16 v74, v103, s21, -v75
	v_mul_f16_e32 v79, 0x3b47, v108
	v_add_f16_e32 v29, v74, v29
	v_fma_f16 v74, v90, s16, v79
	v_mul_f16_e32 v86, 0x3b47, v102
	v_add_f16_e32 v30, v74, v30
	v_fma_f16 v74, v103, s16, -v86
	v_mul_f16_e32 v92, 0xb853, v108
	v_add_f16_e32 v31, v74, v31
	v_fma_f16 v74, v90, s18, v92
	v_mul_f16_e32 v95, 0xb853, v102
	v_add_f16_e32 v32, v74, v32
	v_fma_f16 v74, v103, s18, -v95
	v_sub_f16_e32 v114, v11, v14
	v_add_f16_e32 v33, v74, v33
	v_add_f16_e32 v100, v37, v35
	v_mul_f16_e32 v74, 0xba0c, v114
	v_fma_f16 v78, v100, s19, v74
	v_sub_f16_e32 v110, v37, v35
	v_add_f16_e32 v16, v78, v16
	v_add_f16_e32 v106, v11, v14
	v_mul_f16_e32 v78, 0xba0c, v110
	v_fma_f16 v80, v106, s19, -v78
	v_add_f16_e32 v17, v80, v17
	v_mul_f16_e32 v80, 0x3beb, v114
	v_fma_f16 v84, v100, s20, v80
	v_mul_f16_e32 v87, 0x3beb, v110
	v_add_f16_e32 v99, v84, v28
	v_fma_f16 v28, v106, s20, -v87
	v_mul_f16_e32 v93, 0xb853, v114
	v_add_f16_e32 v104, v28, v29
	v_fma_f16 v28, v100, s18, v93
	v_mul_f16_e32 v98, 0xb853, v110
	v_add_f16_e32 v30, v28, v30
	v_fma_f16 v28, v106, s18, -v98
	v_mul_f16_e32 v101, 0xb482, v114
	v_add_f16_e32 v112, v28, v31
	v_fma_f16 v28, v100, s21, v101
	v_mul_f16_e32 v105, 0xb482, v110
	v_sub_f16_e32 v116, v12, v13
	v_add_f16_e32 v113, v28, v32
	v_fma_f16 v28, v106, s21, -v105
	v_add_f16_e32 v109, v51, v34
	v_mul_f16_e32 v84, 0xb482, v116
	v_sub_f16_e32 v115, v51, v34
	v_add_f16_e32 v117, v28, v33
	v_fma_f16 v28, v109, s21, v84
	v_add_f16_e32 v111, v12, v13
	v_mul_f16_e32 v91, 0xb482, v115
	v_add_f16_e32 v28, v28, v16
	v_fma_f16 v16, v111, s21, -v91
	v_mul_f16_e32 v94, 0x3853, v116
	v_add_f16_e32 v31, v16, v17
	v_fma_f16 v16, v109, s18, v94
	v_add_f16_e32 v29, v16, v99
	v_mul_f16_e32 v99, 0x3853, v115
	v_fma_f16 v16, v111, s18, -v99
	v_add_f16_e32 v32, v16, v104
	v_mul_f16_e32 v104, 0xba0c, v116
	v_fma_f16 v16, v109, s19, v104
	v_mul_f16_e32 v107, 0xba0c, v115
	v_add_f16_e32 v30, v16, v30
	v_fma_f16 v16, v111, s19, -v107
	v_add_f16_e32 v33, v16, v112
	v_mul_f16_e32 v112, 0x3b47, v116
	v_fma_f16 v16, v109, s16, v112
	v_add_f16_e32 v16, v16, v113
	v_mul_f16_e32 v113, 0x3b47, v115
	v_fma_f16 v17, v111, s16, -v113
	v_add_f16_e32 v17, v17, v117
	s_and_saveexec_b64 s[4:5], s[2:3]
	s_cbranch_execz .LBB0_11
; %bb.10:
	v_mul_f16_e32 v118, 0x3abb, v97
	v_mul_f16_e32 v120, 0x36a6, v97
	;; [unrolled: 1-line block ×9, first 2 shown]
	v_fma_f16 v136, v85, s30, v97
	v_mul_f16_e32 v96, 0x3abb, v96
	v_add_f16_sdwa v136, v8, v136 dst_sel:DWORD dst_unused:UNUSED_PAD src0_sel:WORD_1 src1_sel:DWORD
	v_fma_f16 v137, v83, s29, v96
	v_add_f16_e32 v136, v137, v136
	v_mul_f16_e32 v137, 0xb93d, v103
	s_movk_i32 s29, 0x3a0c
	v_fma_f16 v138, v102, s29, v137
	v_add_f16_e32 v136, v138, v136
	v_mul_f16_e32 v138, 0x36a6, v106
	v_fma_f16 v139, v110, s27, v138
	v_add_f16_e32 v136, v139, v136
	v_mul_f16_e32 v139, 0xb08e, v111
	v_mul_f16_e32 v117, 0x3abb, v73
	;; [unrolled: 1-line block ×5, first 2 shown]
	v_fma_f16 v140, v115, s28, v139
	v_mul_f16_e32 v89, 0xb482, v89
	v_add_f16_e32 v136, v140, v136
	v_fma_f16 v140, v73, s21, v89
	v_fma_f16 v85, v85, s26, v97
	v_fma_f16 v73, v73, s21, -v89
	v_add_f16_e32 v81, v81, v124
	v_sub_f16_e32 v76, v123, v76
	v_add_f16_e32 v71, v71, v122
	v_sub_f16_e32 v65, v121, v65
	;; [unrolled: 2-line block ×4, first 2 shown]
	v_add_f16_e32 v140, v8, v140
	v_add_f16_sdwa v85, v8, v85 dst_sel:DWORD dst_unused:UNUSED_PAD src0_sel:WORD_1 src1_sel:DWORD
	v_add_f16_e32 v73, v8, v73
	v_add_f16_sdwa v81, v8, v81 dst_sel:DWORD dst_unused:UNUSED_PAD src0_sel:WORD_1 src1_sel:DWORD
	;; [unrolled: 2-line block ×5, first 2 shown]
	v_add_f16_e32 v58, v8, v58
	v_add_f16_e32 v9, v8, v9
	v_add_f16_sdwa v8, v8, v55 dst_sel:DWORD dst_unused:UNUSED_PAD src0_sel:WORD_1 src1_sel:DWORD
	v_mul_f16_e32 v88, 0x3853, v88
	v_add_f16_e32 v9, v9, v56
	v_add_f16_e32 v8, v8, v53
	v_fma_f16 v141, v69, s18, v88
	v_mul_f16_e32 v108, 0xba0c, v108
	v_add_f16_e32 v9, v9, v36
	v_add_f16_e32 v8, v8, v10
	;; [unrolled: 1-line block ×3, first 2 shown]
	v_fma_f16 v141, v90, s19, v108
	v_mul_f16_e32 v114, 0x3b47, v114
	v_fma_f16 v83, v83, s25, v96
	v_add_f16_e32 v9, v9, v37
	v_add_f16_e32 v8, v8, v11
	v_mul_f16_e32 v125, 0x36a6, v69
	v_add_f16_e32 v140, v141, v140
	v_fma_f16 v141, v100, s16, v114
	v_mul_f16_e32 v116, 0xbbeb, v116
	v_add_f16_e32 v83, v83, v85
	v_fma_f16 v102, v102, s24, v137
	v_add_f16_e32 v9, v9, v51
	v_add_f16_e32 v8, v8, v12
	v_mul_f16_e32 v127, 0xb93d, v69
	v_mul_f16_e32 v129, 0xbbad, v69
	;; [unrolled: 1-line block ×5, first 2 shown]
	v_add_f16_e32 v140, v141, v140
	v_fma_f16 v141, v109, s20, v116
	v_add_f16_e32 v83, v102, v83
	v_fma_f16 v110, v110, s23, v138
	v_fma_f16 v69, v69, s18, -v88
	v_add_f16_e32 v59, v59, v126
	v_sub_f16_e32 v57, v125, v57
	v_add_f16_e32 v9, v9, v34
	v_add_f16_e32 v8, v8, v13
	v_mul_f16_e32 v135, 0xbbad, v90
	v_add_f16_e32 v140, v141, v140
	v_mul_f16_e32 v141, 0xbbad, v103
	v_mul_f16_e32 v97, 0x36a6, v90
	;; [unrolled: 1-line block ×6, first 2 shown]
	v_add_f16_e32 v83, v110, v83
	v_fma_f16 v115, v115, s22, v139
	v_add_f16_e32 v69, v69, v73
	v_fma_f16 v90, v90, s19, -v108
	v_add_f16_e32 v72, v72, v130
	v_sub_f16_e32 v67, v129, v67
	v_add_f16_e32 v63, v63, v128
	v_sub_f16_e32 v61, v127, v61
	v_add_f16_e32 v59, v59, v60
	v_add_f16_e32 v60, v68, v134
	v_add_f16_e32 v57, v57, v58
	v_sub_f16_e32 v58, v133, v66
	v_add_f16_e32 v9, v9, v35
	v_add_f16_e32 v8, v8, v14
	v_mul_f16_e32 v103, 0x3abb, v103
	v_mul_f16_e32 v138, 0xb08e, v100
	;; [unrolled: 1-line block ×4, first 2 shown]
	v_add_f16_e32 v83, v115, v83
	v_mul_f16_e32 v115, 0x3abb, v106
	v_mul_f16_e32 v89, 0xbbad, v100
	;; [unrolled: 1-line block ×4, first 2 shown]
	v_add_f16_e32 v69, v90, v69
	v_fma_f16 v100, v100, s16, -v114
	v_add_f16_e32 v82, v82, v132
	v_sub_f16_e32 v77, v131, v77
	v_add_f16_e32 v71, v72, v71
	v_add_f16_e32 v72, v86, v96
	v_add_f16_e32 v65, v67, v65
	v_sub_f16_e32 v67, v97, v79
	v_add_f16_e32 v63, v63, v64
	v_add_f16_e32 v64, v75, v141
	;; [unrolled: 4-line block ×4, first 2 shown]
	v_mul_f16_e32 v106, 0xbbad, v106
	v_mul_f16_e32 v108, 0x3abb, v109
	;; [unrolled: 1-line block ×4, first 2 shown]
	v_add_f16_e32 v69, v100, v69
	v_mul_f16_e32 v100, 0xb93d, v111
	v_add_f16_e32 v81, v82, v81
	v_add_f16_e32 v82, v95, v103
	v_add_f16_e32 v76, v77, v76
	v_sub_f16_e32 v77, v85, v92
	v_add_f16_e32 v71, v72, v71
	v_add_f16_e32 v72, v98, v115
	v_add_f16_e32 v65, v67, v65
	v_sub_f16_e32 v67, v139, v93
	;; [unrolled: 4-line block ×4, first 2 shown]
	v_add_f16_e32 v9, v9, v26
	v_add_f16_e32 v8, v8, v25
	v_fma_f16 v116, v109, s20, -v116
	v_mul_f16_e32 v109, 0x36a6, v109
	v_mul_f16_e32 v111, 0x36a6, v111
	v_add_f16_e32 v81, v82, v81
	v_add_f16_e32 v82, v105, v106
	v_add_f16_e32 v76, v77, v76
	v_sub_f16_e32 v77, v89, v101
	v_add_f16_e32 v71, v72, v71
	v_add_f16_e32 v72, v107, v100
	v_add_f16_e32 v65, v67, v65
	v_sub_f16_e32 v67, v114, v104
	;; [unrolled: 4-line block ×3, first 2 shown]
	v_add_f16_e32 v59, v60, v59
	v_add_f16_e32 v57, v58, v57
	;; [unrolled: 1-line block ×7, first 2 shown]
	v_sub_f16_e32 v77, v109, v112
	v_add_f16_e32 v71, v72, v71
	v_add_f16_e32 v65, v67, v65
	;; [unrolled: 1-line block ×4, first 2 shown]
	v_add_lshl_u32 v10, v47, v46, 2
	v_pack_b32_f16 v8, v9, v8
	v_pack_b32_f16 v9, v57, v59
	v_add_f16_e32 v69, v116, v69
	v_add_f16_e32 v81, v82, v81
	;; [unrolled: 1-line block ×3, first 2 shown]
	ds_write2_b32 v10, v8, v9 offset1:3
	v_pack_b32_f16 v8, v61, v63
	v_pack_b32_f16 v9, v65, v71
	ds_write2_b32 v10, v8, v9 offset0:6 offset1:9
	v_pack_b32_f16 v8, v76, v81
	v_pack_b32_f16 v9, v69, v83
	s_mov_b32 s16, 0x5040100
	ds_write2_b32 v10, v8, v9 offset0:12 offset1:15
	v_pack_b32_f16 v8, v140, v136
	v_perm_b32 v9, v17, v16, s16
	ds_write2_b32 v10, v8, v9 offset0:18 offset1:21
	v_perm_b32 v8, v33, v30, s16
	v_perm_b32 v9, v32, v29, s16
	ds_write2_b32 v10, v8, v9 offset0:24 offset1:27
	v_perm_b32 v8, v31, v28, s16
	ds_write_b32 v10, v8 offset:120
.LBB0_11:
	s_or_b64 exec, exec, s[4:5]
	s_waitcnt lgkmcnt(0)
	s_barrier
	ds_read_b32 v34, v38
	ds_read_b32 v53, v38 offset:1056
	ds_read_b32 v52, v38 offset:2112
	;; [unrolled: 1-line block ×6, first 2 shown]
	v_cmp_gt_u16_e64 s[4:5], 33, v43
                                        ; implicit-def: $vgpr54
                                        ; implicit-def: $vgpr57
                                        ; implicit-def: $vgpr56
                                        ; implicit-def: $vgpr58
                                        ; implicit-def: $vgpr55
                                        ; implicit-def: $vgpr59
	s_and_saveexec_b64 s[18:19], s[4:5]
	s_cbranch_execz .LBB0_13
; %bb.12:
	ds_read_b32 v16, v38 offset:924
	ds_read_b32 v30, v38 offset:1980
	;; [unrolled: 1-line block ×7, first 2 shown]
	s_waitcnt lgkmcnt(6)
	v_lshrrev_b32_e32 v17, 16, v16
	s_waitcnt lgkmcnt(5)
	v_lshrrev_b32_e32 v33, 16, v30
	;; [unrolled: 2-line block ×7, first 2 shown]
.LBB0_13:
	s_or_b64 exec, exec, s[18:19]
	s_mov_b32 s16, 0xf83f
	v_mul_u32_u24_sdwa v8, v24, s16 dst_sel:DWORD dst_unused:UNUSED_PAD src0_sel:WORD_0 src1_sel:DWORD
	v_lshrrev_b32_e32 v8, 21, v8
	v_mul_lo_u16_e32 v8, 33, v8
	v_sub_u16_e32 v68, v24, v8
	v_mul_lo_u16_e32 v8, 24, v68
	v_mov_b32_e32 v9, s15
	v_add_co_u32_e32 v12, vcc, s14, v8
	v_addc_co_u32_e32 v13, vcc, 0, v9, vcc
	s_movk_i32 s16, 0xf9
	global_load_dwordx4 v[8:11], v[12:13], off offset:120
	global_load_dwordx2 v[24:25], v[12:13], off offset:136
	v_mul_lo_u16_sdwa v12, v43, s16 dst_sel:DWORD dst_unused:UNUSED_PAD src0_sel:BYTE_0 src1_sel:DWORD
	v_lshrrev_b16_e32 v62, 13, v12
	v_mul_lo_u16_e32 v12, 33, v62
	v_sub_u16_e32 v12, v43, v12
	v_and_b32_e32 v69, 0xff, v12
	v_mad_u64_u32 v[60:61], s[18:19], v69, 24, s[14:15]
	global_load_dwordx4 v[12:15], v[60:61], off offset:120
	global_load_dwordx2 v[26:27], v[60:61], off offset:136
	s_waitcnt lgkmcnt(5)
	v_lshrrev_b32_e32 v60, 16, v53
	s_waitcnt lgkmcnt(4)
	v_lshrrev_b32_e32 v61, 16, v52
	;; [unrolled: 2-line block ×4, first 2 shown]
	v_lshrrev_b32_e32 v63, 16, v51
	v_lshrrev_b32_e32 v64, 16, v37
	s_movk_i32 s18, 0x3b00
	s_mov_b32 s19, 0xbcab
	s_movk_i32 s20, 0x39e0
	s_movk_i32 s16, 0x2b26
	s_mov_b32 s21, 0xb9e0
	s_movk_i32 s22, 0x3574
	s_mov_b32 s23, 0xb574
	s_movk_i32 s24, 0x370e
	s_waitcnt vmcnt(0)
	s_barrier
	v_mul_f16_sdwa v67, v33, v8 dst_sel:DWORD dst_unused:UNUSED_PAD src0_sel:DWORD src1_sel:WORD_1
	v_mul_f16_sdwa v70, v30, v8 dst_sel:DWORD dst_unused:UNUSED_PAD src0_sel:DWORD src1_sel:WORD_1
	v_mul_f16_sdwa v71, v32, v9 dst_sel:DWORD dst_unused:UNUSED_PAD src0_sel:DWORD src1_sel:WORD_1
	v_mul_f16_sdwa v77, v57, v24 dst_sel:DWORD dst_unused:UNUSED_PAD src0_sel:DWORD src1_sel:WORD_1
	v_mul_f16_sdwa v79, v58, v25 dst_sel:DWORD dst_unused:UNUSED_PAD src0_sel:DWORD src1_sel:WORD_1
	v_mul_f16_sdwa v80, v56, v25 dst_sel:DWORD dst_unused:UNUSED_PAD src0_sel:DWORD src1_sel:WORD_1
	v_mul_f16_sdwa v72, v29, v9 dst_sel:DWORD dst_unused:UNUSED_PAD src0_sel:DWORD src1_sel:WORD_1
	v_mul_f16_sdwa v73, v31, v10 dst_sel:DWORD dst_unused:UNUSED_PAD src0_sel:DWORD src1_sel:WORD_1
	v_mul_f16_sdwa v74, v28, v10 dst_sel:DWORD dst_unused:UNUSED_PAD src0_sel:DWORD src1_sel:WORD_1
	v_mul_f16_sdwa v75, v59, v11 dst_sel:DWORD dst_unused:UNUSED_PAD src0_sel:DWORD src1_sel:WORD_1
	v_mul_f16_sdwa v76, v55, v11 dst_sel:DWORD dst_unused:UNUSED_PAD src0_sel:DWORD src1_sel:WORD_1
	v_mul_f16_sdwa v78, v54, v24 dst_sel:DWORD dst_unused:UNUSED_PAD src0_sel:DWORD src1_sel:WORD_1
	v_fma_f16 v30, v30, v8, -v67
	v_fma_f16 v33, v33, v8, v70
	v_fma_f16 v29, v29, v9, -v71
	v_fma_f16 v54, v54, v24, -v77
	;; [unrolled: 1-line block ×3, first 2 shown]
	v_fma_f16 v58, v58, v25, v80
	v_mul_f16_sdwa v67, v60, v12 dst_sel:DWORD dst_unused:UNUSED_PAD src0_sel:DWORD src1_sel:WORD_1
	v_mul_f16_sdwa v70, v53, v12 dst_sel:DWORD dst_unused:UNUSED_PAD src0_sel:DWORD src1_sel:WORD_1
	;; [unrolled: 1-line block ×6, first 2 shown]
	v_fma_f16 v32, v32, v9, v72
	v_fma_f16 v28, v28, v10, -v73
	v_fma_f16 v31, v31, v10, v74
	v_fma_f16 v55, v55, v11, -v75
	v_fma_f16 v59, v59, v11, v76
	v_fma_f16 v57, v57, v24, v78
	v_mul_f16_sdwa v72, v52, v13 dst_sel:DWORD dst_unused:UNUSED_PAD src0_sel:DWORD src1_sel:WORD_1
	v_mul_f16_sdwa v73, v63, v14 dst_sel:DWORD dst_unused:UNUSED_PAD src0_sel:DWORD src1_sel:WORD_1
	;; [unrolled: 1-line block ×6, first 2 shown]
	v_fma_f16 v53, v53, v12, -v67
	v_fma_f16 v60, v60, v12, v70
	v_fma_f16 v52, v52, v13, -v71
	v_fma_f16 v36, v36, v26, -v77
	;; [unrolled: 1-line block ×3, first 2 shown]
	v_fma_f16 v66, v66, v27, v80
	v_fma_f16 v61, v61, v13, v72
	v_fma_f16 v51, v51, v14, -v73
	v_fma_f16 v63, v63, v14, v74
	v_fma_f16 v37, v37, v15, -v75
	v_fma_f16 v64, v64, v15, v76
	v_fma_f16 v65, v65, v26, v78
	v_add_f16_e32 v67, v53, v35
	v_add_f16_e32 v70, v60, v66
	v_sub_f16_e32 v35, v53, v35
	v_sub_f16_e32 v53, v60, v66
	v_add_f16_e32 v60, v52, v36
	v_add_f16_e32 v66, v61, v65
	v_sub_f16_e32 v36, v52, v36
	v_sub_f16_e32 v52, v61, v65
	;; [unrolled: 4-line block ×4, first 2 shown]
	v_sub_f16_e32 v60, v61, v60
	v_add_f16_e32 v73, v37, v36
	v_add_f16_e32 v74, v51, v52
	v_sub_f16_e32 v75, v37, v36
	v_sub_f16_e32 v76, v51, v52
	v_add_f16_e32 v61, v61, v63
	v_sub_f16_e32 v72, v66, v70
	v_sub_f16_e32 v70, v70, v65
	;; [unrolled: 1-line block ×7, first 2 shown]
	v_add_f16_e32 v63, v65, v64
	v_add_f16_e32 v35, v73, v35
	;; [unrolled: 1-line block ×4, first 2 shown]
	v_mul_f16_e32 v64, 0x3a52, v67
	v_mul_f16_e32 v67, 0x2b26, v60
	;; [unrolled: 1-line block ×4, first 2 shown]
	v_add_f16_sdwa v34, v34, v63 dst_sel:DWORD dst_unused:UNUSED_PAD src0_sel:WORD_1 src1_sel:DWORD
	v_mul_f16_e32 v65, 0x3a52, v70
	v_mul_f16_e32 v70, 0x2b26, v66
	;; [unrolled: 1-line block ×4, first 2 shown]
	v_fma_f16 v61, v61, s19, v73
	v_fma_f16 v67, v71, s20, -v67
	v_fma_f16 v52, v52, s18, -v75
	v_fma_f16 v63, v63, s19, v34
	v_fma_f16 v60, v60, s16, v64
	;; [unrolled: 1-line block ×3, first 2 shown]
	v_fma_f16 v70, v72, s20, -v70
	v_fma_f16 v64, v71, s21, -v64
	;; [unrolled: 1-line block ×3, first 2 shown]
	v_fma_f16 v71, v37, s22, v74
	v_fma_f16 v72, v51, s22, v75
	v_fma_f16 v36, v36, s18, -v74
	v_fma_f16 v37, v37, s23, -v76
	;; [unrolled: 1-line block ×3, first 2 shown]
	v_add_f16_e32 v67, v67, v61
	v_fma_f16 v52, v53, s24, v52
	v_add_f16_e32 v60, v60, v61
	v_add_f16_e32 v66, v66, v63
	;; [unrolled: 1-line block ×5, first 2 shown]
	v_fma_f16 v64, v35, s24, v71
	v_fma_f16 v65, v53, s24, v72
	;; [unrolled: 1-line block ×5, first 2 shown]
	v_sub_f16_e32 v75, v67, v52
	v_add_f16_e32 v77, v52, v67
	v_add_f16_e32 v52, v30, v56
	;; [unrolled: 1-line block ×3, first 2 shown]
	v_sub_f16_e32 v30, v30, v56
	v_sub_f16_e32 v33, v33, v58
	v_add_f16_e32 v56, v29, v54
	v_add_f16_e32 v58, v32, v57
	v_sub_f16_e32 v29, v29, v54
	v_sub_f16_e32 v32, v32, v57
	v_add_f16_e32 v54, v28, v55
	v_add_f16_e32 v57, v31, v59
	v_sub_f16_e32 v28, v55, v28
	v_sub_f16_e32 v31, v59, v31
	v_add_f16_e32 v55, v56, v52
	v_add_f16_e32 v59, v58, v53
	v_add_f16_e32 v51, v65, v60
	v_add_f16_e32 v72, v37, v61
	v_sub_f16_e32 v74, v63, v35
	v_add_f16_e32 v76, v36, v70
	v_sub_f16_e32 v36, v70, v36
	v_sub_f16_e32 v37, v61, v37
	v_add_f16_e32 v35, v35, v63
	v_sub_f16_e32 v70, v60, v65
	v_sub_f16_e32 v60, v56, v52
	;; [unrolled: 1-line block ×7, first 2 shown]
	v_add_f16_e32 v63, v28, v29
	v_sub_f16_e32 v65, v28, v29
	v_sub_f16_e32 v29, v29, v30
	v_add_f16_e32 v54, v54, v55
	v_add_f16_e32 v55, v57, v59
	v_sub_f16_e32 v71, v66, v64
	v_add_f16_e32 v78, v64, v66
	v_add_f16_e32 v64, v31, v32
	v_sub_f16_e32 v66, v31, v32
	v_sub_f16_e32 v28, v30, v28
	;; [unrolled: 1-line block ×3, first 2 shown]
	v_add_f16_e32 v30, v63, v30
	v_add_f16_e32 v16, v16, v54
	;; [unrolled: 1-line block ×3, first 2 shown]
	v_mul_f16_e32 v52, 0x3a52, v52
	v_mul_f16_e32 v53, 0x3a52, v53
	v_mul_f16_e32 v57, 0x2b26, v56
	v_mul_f16_e32 v59, 0x2b26, v58
	v_mul_f16_e32 v63, 0xb846, v65
	v_mul_f16_e32 v65, 0x3b00, v29
	v_sub_f16_e32 v31, v33, v31
	v_add_f16_e32 v33, v64, v33
	v_mul_f16_e32 v64, 0xb846, v66
	v_mul_f16_e32 v66, 0x3b00, v32
	v_fma_f16 v54, v54, s19, v16
	v_fma_f16 v55, v55, s19, v17
	;; [unrolled: 1-line block ×4, first 2 shown]
	v_fma_f16 v57, v60, s20, -v57
	v_fma_f16 v59, v61, s20, -v59
	;; [unrolled: 1-line block ×4, first 2 shown]
	v_fma_f16 v60, v28, s22, v63
	v_fma_f16 v28, v28, s23, -v65
	v_fma_f16 v61, v31, s22, v64
	v_fma_f16 v29, v29, s18, -v63
	v_fma_f16 v32, v32, s18, -v64
	;; [unrolled: 1-line block ×3, first 2 shown]
	v_add_f16_e32 v79, v56, v54
	v_add_f16_e32 v58, v58, v55
	;; [unrolled: 1-line block ×5, first 2 shown]
	v_fma_f16 v28, v30, s24, v28
	v_add_f16_e32 v54, v52, v54
	v_fma_f16 v59, v30, s24, v60
	v_fma_f16 v53, v30, s24, v29
	;; [unrolled: 1-line block ×4, first 2 shown]
	v_sub_f16_e32 v65, v55, v28
	v_add_f16_e32 v55, v28, v55
	v_mul_u32_u24_e32 v28, 0xe7, v62
	v_add_f16_e32 v29, v30, v54
	v_sub_f16_e32 v63, v56, v32
	v_add_f16_e32 v64, v53, v57
	v_add_f16_e32 v52, v32, v56
	v_sub_f16_e32 v56, v57, v53
	v_sub_f16_e32 v53, v54, v30
	v_add_lshl_u32 v62, v28, v69, 2
	v_pack_b32_f16 v28, v73, v34
	v_pack_b32_f16 v30, v51, v71
	ds_write2_b32 v62, v28, v30 offset1:33
	v_pack_b32_f16 v28, v72, v74
	v_pack_b32_f16 v30, v75, v76
	v_fma_f16 v60, v33, s24, v61
	ds_write2_b32 v62, v28, v30 offset0:66 offset1:99
	v_pack_b32_f16 v28, v77, v36
	v_pack_b32_f16 v30, v37, v35
	v_add_f16_e32 v66, v60, v79
	v_sub_f16_e32 v67, v58, v59
	v_sub_f16_e32 v60, v79, v60
	v_add_f16_e32 v61, v59, v58
	ds_write2_b32 v62, v28, v30 offset0:132 offset1:165
	v_pack_b32_f16 v28, v70, v78
	v_lshlrev_b32_e32 v51, 2, v68
	ds_write_b32 v62, v28 offset:792
	s_and_saveexec_b64 s[18:19], s[4:5]
	s_cbranch_execz .LBB0_15
; %bb.14:
	s_mov_b32 s16, 0x5040100
	v_perm_b32 v16, v17, v16, s16
	v_perm_b32 v17, v67, v66, s16
	v_add_u32_e32 v28, 0x1800, v51
	ds_write2_b32 v28, v16, v17 offset0:81 offset1:114
	v_perm_b32 v16, v65, v29, s16
	v_perm_b32 v17, v64, v63, s16
	ds_write2_b32 v28, v16, v17 offset0:147 offset1:180
	v_perm_b32 v16, v56, v52, s16
	v_perm_b32 v17, v55, v53, s16
	ds_write2_b32 v28, v16, v17 offset0:213 offset1:246
	v_perm_b32 v16, v61, v60, s16
	ds_write_b32 v51, v16 offset:7260
.LBB0_15:
	s_or_b64 exec, exec, s[18:19]
	v_lshlrev_b32_e32 v28, 2, v18
	s_waitcnt lgkmcnt(0)
	s_barrier
	global_load_dwordx3 v[16:18], v28, s[14:15] offset:912
	v_add_u32_e32 v71, 0x700, v38
	ds_read2_b32 v[30:31], v38 offset1:231
	v_add_u32_e32 v68, 0xe40, v38
	v_add_u32_e32 v69, 0x1580, v38
	ds_read2_b32 v[32:33], v71 offset0:14 offset1:245
	ds_read2_b32 v[34:35], v68 offset0:12 offset1:243
	;; [unrolled: 1-line block ×3, first 2 shown]
	s_waitcnt lgkmcnt(0)
	v_lshrrev_b32_e32 v57, 16, v30
	v_lshrrev_b32_e32 v59, 16, v32
	v_lshrrev_b32_e32 v70, 16, v34
	v_lshrrev_b32_e32 v72, 16, v36
	v_lshrrev_b32_e32 v73, 16, v33
	v_lshrrev_b32_e32 v74, 16, v35
	v_lshrrev_b32_e32 v75, 16, v37
	v_lshrrev_b32_e32 v58, 16, v31
	s_waitcnt vmcnt(0)
	s_barrier
	v_mov_b32_e32 v54, s15
	v_add_co_u32_e32 v28, vcc, s14, v28
	v_addc_co_u32_e32 v54, vcc, 0, v54, vcc
	s_movk_i32 s14, 0x1000
	v_mul_f16_sdwa v76, v59, v16 dst_sel:DWORD dst_unused:UNUSED_PAD src0_sel:DWORD src1_sel:WORD_1
	v_mul_f16_sdwa v77, v32, v16 dst_sel:DWORD dst_unused:UNUSED_PAD src0_sel:DWORD src1_sel:WORD_1
	;; [unrolled: 1-line block ×12, first 2 shown]
	v_fma_f16 v32, v32, v16, -v76
	v_fma_f16 v59, v59, v16, v77
	v_fma_f16 v34, v34, v17, -v78
	v_fma_f16 v70, v70, v17, v79
	;; [unrolled: 2-line block ×6, first 2 shown]
	v_sub_f16_e32 v34, v30, v34
	v_sub_f16_e32 v70, v57, v70
	;; [unrolled: 1-line block ×8, first 2 shown]
	v_fma_f16 v30, v30, 2.0, -v34
	v_fma_f16 v57, v57, 2.0, -v70
	;; [unrolled: 1-line block ×4, first 2 shown]
	v_sub_f16_e32 v72, v34, v72
	v_add_f16_e32 v36, v70, v36
	v_fma_f16 v31, v31, 2.0, -v35
	v_fma_f16 v58, v58, 2.0, -v74
	;; [unrolled: 1-line block ×4, first 2 shown]
	v_sub_f16_e32 v32, v30, v32
	v_sub_f16_e32 v59, v57, v59
	;; [unrolled: 1-line block ×3, first 2 shown]
	v_add_f16_e32 v37, v74, v37
	v_fma_f16 v34, v34, 2.0, -v72
	v_fma_f16 v70, v70, 2.0, -v36
	v_sub_f16_e32 v33, v31, v33
	v_sub_f16_e32 v73, v58, v73
	v_fma_f16 v30, v30, 2.0, -v32
	v_fma_f16 v57, v57, 2.0, -v59
	;; [unrolled: 1-line block ×6, first 2 shown]
	v_pack_b32_f16 v34, v34, v70
	v_pack_b32_f16 v30, v30, v57
	;; [unrolled: 1-line block ×4, first 2 shown]
	ds_write2_b32 v38, v30, v34 offset1:231
	ds_write2_b32 v71, v32, v36 offset0:14 offset1:245
	v_pack_b32_f16 v30, v31, v58
	v_pack_b32_f16 v31, v35, v74
	ds_write2_b32 v68, v30, v31 offset0:12 offset1:243
	v_pack_b32_f16 v30, v33, v73
	v_pack_b32_f16 v31, v75, v37
	ds_write2_b32 v69, v30, v31 offset0:10 offset1:241
	v_lshlrev_b32_e32 v30, 3, v43
	v_sub_co_u32_e32 v30, vcc, v28, v30
	v_subbrev_co_u32_e32 v31, vcc, 0, v54, vcc
	s_waitcnt lgkmcnt(0)
	s_barrier
	global_load_dword v54, v[30:31], off offset:3684
	v_add_co_u32_e32 v30, vcc, s14, v30
	v_addc_co_u32_e32 v31, vcc, 0, v31, vcc
	global_load_dword v57, v[30:31], off offset:512
	global_load_dword v58, v[30:31], off offset:1436
	;; [unrolled: 1-line block ×3, first 2 shown]
	ds_read2_b32 v[30:31], v38 offset1:231
	ds_read2_b32 v[32:33], v68 offset0:12 offset1:243
	ds_read2_b32 v[34:35], v71 offset0:14 offset1:245
	;; [unrolled: 1-line block ×3, first 2 shown]
	v_mov_b32_e32 v28, s17
	v_addc_co_u32_e64 v73, vcc, 0, v28, s[6:7]
	s_waitcnt lgkmcnt(2)
	v_lshrrev_b32_e32 v68, 16, v32
	v_lshrrev_b32_e32 v69, 16, v33
	s_waitcnt lgkmcnt(0)
	v_lshrrev_b32_e32 v75, 16, v36
	v_lshrrev_b32_e32 v77, 16, v37
	;; [unrolled: 1-line block ×6, first 2 shown]
	s_movk_i32 s6, 0x1ce0
	v_add_u32_e32 v72, 0x1200, v38
	s_waitcnt vmcnt(3)
	v_mul_f16_sdwa v78, v68, v54 dst_sel:DWORD dst_unused:UNUSED_PAD src0_sel:DWORD src1_sel:WORD_1
	v_mul_f16_sdwa v79, v32, v54 dst_sel:DWORD dst_unused:UNUSED_PAD src0_sel:DWORD src1_sel:WORD_1
	v_fma_f16 v32, v32, v54, -v78
	s_waitcnt vmcnt(2)
	v_mul_f16_sdwa v80, v69, v57 dst_sel:DWORD dst_unused:UNUSED_PAD src0_sel:DWORD src1_sel:WORD_1
	v_mul_f16_sdwa v81, v33, v57 dst_sel:DWORD dst_unused:UNUSED_PAD src0_sel:DWORD src1_sel:WORD_1
	s_waitcnt vmcnt(1)
	v_mul_f16_sdwa v82, v75, v58 dst_sel:DWORD dst_unused:UNUSED_PAD src0_sel:DWORD src1_sel:WORD_1
	v_mul_f16_sdwa v83, v36, v58 dst_sel:DWORD dst_unused:UNUSED_PAD src0_sel:DWORD src1_sel:WORD_1
	;; [unrolled: 3-line block ×3, first 2 shown]
	v_fma_f16 v68, v68, v54, v79
	v_fma_f16 v33, v33, v57, -v80
	v_fma_f16 v69, v69, v57, v81
	v_fma_f16 v36, v36, v58, -v82
	v_fma_f16 v75, v75, v58, v83
	v_fma_f16 v37, v37, v59, -v84
	v_fma_f16 v77, v77, v59, v85
	v_sub_f16_e32 v32, v30, v32
	v_sub_f16_e32 v78, v28, v68
	;; [unrolled: 1-line block ×8, first 2 shown]
	v_fma_f16 v30, v30, 2.0, -v32
	v_fma_f16 v37, v28, 2.0, -v78
	;; [unrolled: 1-line block ×8, first 2 shown]
	v_pack_b32_f16 v32, v32, v78
	v_pack_b32_f16 v30, v30, v37
	;; [unrolled: 1-line block ×6, first 2 shown]
	ds_write_b32 v38, v32 offset:3696
	v_pack_b32_f16 v32, v34, v74
	v_pack_b32_f16 v34, v28, v70
	ds_write2_b32 v38, v30, v31 offset1:231
	ds_write2_b32 v72, v33, v35 offset0:3 offset1:234
	ds_write2_b32 v71, v32, v34 offset0:14 offset1:245
	ds_write_b32 v38, v36 offset:6468
	v_add_co_u32_e32 v30, vcc, s6, v19
	v_addc_co_u32_e32 v31, vcc, 0, v73, vcc
	v_add_co_u32_e32 v32, vcc, s14, v19
	v_addc_co_u32_e32 v33, vcc, 0, v73, vcc
	s_movk_i32 s6, 0x3000
	v_add_co_u32_e32 v34, vcc, s6, v19
	v_addc_co_u32_e32 v35, vcc, 0, v73, vcc
	s_waitcnt lgkmcnt(0)
	s_barrier
	global_load_dword v73, v[34:35], off offset:32
	global_load_dword v74, v[34:35], off offset:956
	global_load_dword v71, v[32:33], off offset:3296
	global_load_dword v75, v[30:31], off offset:3388
	global_load_dword v72, v[30:31], off offset:924
	global_load_dword v76, v[30:31], off offset:2464
	ds_read2_b32 v[36:37], v38 offset1:231
	v_add_u32_e32 v33, 0x980, v38
	v_add_u32_e32 v35, 0x1300, v38
	s_waitcnt lgkmcnt(0)
	v_lshrrev_b32_e32 v32, 16, v36
	v_lshrrev_b32_e32 v34, 16, v37
	s_waitcnt vmcnt(3)
	v_mul_f16_sdwa v77, v32, v71 dst_sel:DWORD dst_unused:UNUSED_PAD src0_sel:DWORD src1_sel:WORD_1
	v_mul_f16_sdwa v78, v36, v71 dst_sel:DWORD dst_unused:UNUSED_PAD src0_sel:DWORD src1_sel:WORD_1
	v_fma_f16 v36, v36, v71, -v77
	v_fma_f16 v32, v32, v71, v78
	v_pack_b32_f16 v32, v36, v32
	s_waitcnt vmcnt(1)
	v_mul_f16_sdwa v79, v34, v72 dst_sel:DWORD dst_unused:UNUSED_PAD src0_sel:DWORD src1_sel:WORD_1
	v_mul_f16_sdwa v80, v37, v72 dst_sel:DWORD dst_unused:UNUSED_PAD src0_sel:DWORD src1_sel:WORD_1
	ds_write_b32 v38, v32
	v_fma_f16 v77, v37, v72, -v79
	ds_read2_b32 v[36:37], v33 offset0:8 offset1:239
	v_fma_f16 v32, v34, v72, v80
	ds_read2_b32 v[71:72], v35 offset0:16 offset1:247
	v_pack_b32_f16 v32, v77, v32
	ds_write_b32 v38, v32 offset:924
	s_waitcnt lgkmcnt(2)
	v_lshrrev_b32_e32 v32, 16, v36
	s_waitcnt vmcnt(0)
	v_mul_f16_sdwa v34, v36, v76 dst_sel:DWORD dst_unused:UNUSED_PAD src0_sel:DWORD src1_sel:WORD_1
	s_waitcnt lgkmcnt(1)
	v_lshrrev_b32_e32 v77, 16, v71
	v_mul_f16_sdwa v78, v71, v73 dst_sel:DWORD dst_unused:UNUSED_PAD src0_sel:DWORD src1_sel:WORD_1
	v_lshrrev_b32_e32 v79, 16, v37
	v_mul_f16_sdwa v80, v37, v75 dst_sel:DWORD dst_unused:UNUSED_PAD src0_sel:DWORD src1_sel:WORD_1
	;; [unrolled: 2-line block ×3, first 2 shown]
	v_fma_f16 v32, v32, v76, v34
	v_mul_f16_sdwa v34, v77, v73 dst_sel:DWORD dst_unused:UNUSED_PAD src0_sel:DWORD src1_sel:WORD_1
	v_fma_f16 v77, v77, v73, v78
	v_mul_f16_sdwa v78, v79, v75 dst_sel:DWORD dst_unused:UNUSED_PAD src0_sel:DWORD src1_sel:WORD_1
	v_mul_f16_sdwa v82, v72, v74 dst_sel:DWORD dst_unused:UNUSED_PAD src0_sel:DWORD src1_sel:WORD_1
	v_fma_f16 v79, v79, v75, v80
	v_mul_f16_sdwa v80, v81, v74 dst_sel:DWORD dst_unused:UNUSED_PAD src0_sel:DWORD src1_sel:WORD_1
	v_fma_f16 v36, v36, v76, -v83
	v_fma_f16 v37, v37, v75, -v78
	v_fma_f16 v81, v81, v74, v82
	v_fma_f16 v34, v71, v73, -v34
	v_fma_f16 v71, v72, v74, -v80
	v_pack_b32_f16 v32, v36, v32
	v_pack_b32_f16 v36, v37, v79
	;; [unrolled: 1-line block ×4, first 2 shown]
	ds_write2_b32 v33, v32, v36 offset0:8 offset1:239
	ds_write2_b32 v35, v34, v37 offset0:16 offset1:247
	s_and_saveexec_b64 s[6:7], s[0:1]
	s_cbranch_execz .LBB0_17
; %bb.16:
	global_load_dword v32, v[30:31], off offset:1848
	v_add_co_u32_e32 v30, vcc, 0x1000, v30
	v_addc_co_u32_e32 v31, vcc, 0, v31, vcc
	global_load_dword v34, v[30:31], off offset:216
	global_load_dword v36, v[30:31], off offset:2680
	ds_read_b32 v30, v38 offset:1848
	ds_read_b32 v31, v38 offset:4312
	;; [unrolled: 1-line block ×3, first 2 shown]
	s_waitcnt lgkmcnt(2)
	v_lshrrev_b32_e32 v71, 16, v30
	s_waitcnt lgkmcnt(1)
	v_lshrrev_b32_e32 v72, 16, v31
	;; [unrolled: 2-line block ×3, first 2 shown]
	s_waitcnt vmcnt(2)
	v_mul_f16_sdwa v74, v71, v32 dst_sel:DWORD dst_unused:UNUSED_PAD src0_sel:DWORD src1_sel:WORD_1
	v_mul_f16_sdwa v75, v30, v32 dst_sel:DWORD dst_unused:UNUSED_PAD src0_sel:DWORD src1_sel:WORD_1
	v_fma_f16 v30, v30, v32, -v74
	v_fma_f16 v32, v71, v32, v75
	v_pack_b32_f16 v30, v30, v32
	s_waitcnt vmcnt(1)
	v_mul_f16_sdwa v32, v72, v34 dst_sel:DWORD dst_unused:UNUSED_PAD src0_sel:DWORD src1_sel:WORD_1
	v_mul_f16_sdwa v71, v31, v34 dst_sel:DWORD dst_unused:UNUSED_PAD src0_sel:DWORD src1_sel:WORD_1
	s_waitcnt vmcnt(0)
	v_mul_f16_sdwa v74, v73, v36 dst_sel:DWORD dst_unused:UNUSED_PAD src0_sel:DWORD src1_sel:WORD_1
	v_mul_f16_sdwa v75, v37, v36 dst_sel:DWORD dst_unused:UNUSED_PAD src0_sel:DWORD src1_sel:WORD_1
	ds_write_b32 v38, v30 offset:1848
	v_fma_f16 v30, v31, v34, -v32
	v_fma_f16 v31, v72, v34, v71
	v_fma_f16 v32, v37, v36, -v74
	v_fma_f16 v34, v73, v36, v75
	v_pack_b32_f16 v30, v30, v31
	v_pack_b32_f16 v31, v32, v34
	ds_write_b32 v38, v30 offset:4312
	ds_write_b32 v38, v31 offset:6776
.LBB0_17:
	s_or_b64 exec, exec, s[6:7]
	s_waitcnt lgkmcnt(0)
	s_barrier
	ds_read2_b32 v[31:32], v38 offset1:231
	ds_read2_b32 v[33:34], v33 offset0:8 offset1:239
	ds_read2_b32 v[35:36], v35 offset0:16 offset1:247
	s_and_saveexec_b64 s[6:7], s[0:1]
	s_cbranch_execz .LBB0_19
; %bb.18:
	ds_read_b32 v28, v38 offset:1848
	ds_read_b32 v68, v38 offset:4312
	;; [unrolled: 1-line block ×3, first 2 shown]
	s_waitcnt lgkmcnt(2)
	v_lshrrev_b32_e32 v70, 16, v28
	s_waitcnt lgkmcnt(1)
	v_lshrrev_b32_e32 v69, 16, v68
	;; [unrolled: 2-line block ×3, first 2 shown]
.LBB0_19:
	s_or_b64 exec, exec, s[6:7]
	s_waitcnt lgkmcnt(0)
	v_pk_add_f16 v37, v33, v35
	v_pk_fma_f16 v73, v37, 0.5, v31 op_sel_hi:[1,0,1] neg_lo:[1,0,0] neg_hi:[1,0,0]
	v_pk_add_f16 v37, v34, v36
	v_pk_add_f16 v30, v31, v33
	v_pk_add_f16 v31, v33, v35 neg_lo:[0,1] neg_hi:[0,1]
	s_movk_i32 s6, 0x3aee
	v_pk_add_f16 v33, v32, v34
	v_pk_fma_f16 v74, v37, 0.5, v32 op_sel_hi:[1,0,1] neg_lo:[1,0,0] neg_hi:[1,0,0]
	v_pk_add_f16 v32, v34, v36 neg_lo:[0,1] neg_hi:[0,1]
	v_pk_mul_f16 v75, v32, s6 op_sel_hi:[1,0]
	v_add_f16_e32 v32, v68, v28
	v_pk_add_f16 v33, v33, v36
	v_add_f16_e32 v36, v66, v32
	v_add_f16_e32 v32, v66, v68
	v_fma_f16 v28, v32, -0.5, v28
	v_sub_f16_e32 v32, v69, v67
	s_mov_b32 s7, 0xbaee
	v_fma_f16 v37, v32, s7, v28
	v_fma_f16 v28, v32, s6, v28
	v_add_f16_e32 v32, v69, v70
	v_add_f16_e32 v72, v67, v32
	;; [unrolled: 1-line block ×3, first 2 shown]
	v_pk_add_f16 v30, v30, v35
	v_pk_mul_f16 v35, v31, s6 op_sel_hi:[1,0]
	v_fma_f16 v32, v32, -0.5, v70
	v_sub_f16_e32 v66, v68, v66
	v_pk_add_f16 v31, v73, v35 op_sel:[0,1] op_sel_hi:[1,0] neg_lo:[0,1] neg_hi:[0,1]
	v_fma_f16 v70, v66, s6, v32
	v_fma_f16 v71, v66, s7, v32
	v_pk_add_f16 v32, v73, v35 op_sel:[0,1] op_sel_hi:[1,0]
	s_mov_b32 s6, 0xffff
	v_bfi_b32 v35, s6, v32, v31
	v_bfi_b32 v66, s6, v31, v32
	v_pk_add_f16 v34, v74, v75 op_sel:[0,1] op_sel_hi:[1,0] neg_lo:[0,1] neg_hi:[0,1]
	s_barrier
	ds_write_b32 v48, v30
	ds_write2_b32 v48, v66, v35 offset0:1 offset1:2
	ds_write_b32 v50, v33
	v_pk_add_f16 v35, v74, v75 op_sel:[0,1] op_sel_hi:[1,0]
	v_bfi_b32 v48, s6, v35, v34
	v_bfi_b32 v66, s6, v34, v35
	ds_write2_b32 v50, v66, v48 offset0:1 offset1:2
	s_and_saveexec_b64 s[6:7], s[0:1]
	s_cbranch_execz .LBB0_21
; %bb.20:
	s_mov_b32 s14, 0x5040100
	v_lshlrev_b32_e32 v48, 2, v49
	v_perm_b32 v49, v70, v37, s14
	v_perm_b32 v50, v72, v36, s14
	ds_write2_b32 v48, v50, v49 offset1:1
	v_perm_b32 v49, v71, v28, s14
	ds_write_b32 v48, v49 offset:8
.LBB0_21:
	s_or_b64 exec, exec, s[6:7]
	v_lshrrev_b32_e32 v50, 16, v31
	v_lshrrev_b32_e32 v68, 16, v34
	v_lshrrev_b32_e32 v49, 16, v32
	v_lshrrev_b32_e32 v67, 16, v35
	s_waitcnt lgkmcnt(0)
	s_barrier
	s_and_saveexec_b64 s[6:7], s[2:3]
	s_cbranch_execz .LBB0_23
; %bb.22:
	v_add_u32_e32 v28, 0x400, v38
	ds_read2_b32 v[32:33], v28 offset0:80 offset1:248
	v_add_u32_e32 v28, 0xa00, v38
	ds_read2_b32 v[34:35], v28 offset0:32 offset1:200
	;; [unrolled: 2-line block ×3, first 2 shown]
	v_add_u32_e32 v28, 0x1400, v38
	ds_read2_b32 v[30:31], v38 offset1:168
	ds_read2_b32 v[28:29], v28 offset0:64 offset1:232
	ds_read_b32 v63, v38 offset:6720
	s_waitcnt lgkmcnt(5)
	v_lshrrev_b32_e32 v50, 16, v32
	s_waitcnt lgkmcnt(4)
	v_lshrrev_b32_e32 v67, 16, v34
	;; [unrolled: 2-line block ×3, first 2 shown]
	v_lshrrev_b32_e32 v68, 16, v35
	v_lshrrev_b32_e32 v72, 16, v36
	;; [unrolled: 1-line block ×3, first 2 shown]
	s_waitcnt lgkmcnt(1)
	v_lshrrev_b32_e32 v71, 16, v28
	v_lshrrev_b32_e32 v65, 16, v29
	s_waitcnt lgkmcnt(0)
	v_lshrrev_b32_e32 v64, 16, v63
.LBB0_23:
	s_or_b64 exec, exec, s[6:7]
	v_mul_f16_sdwa v48, v0, v49 dst_sel:DWORD dst_unused:UNUSED_PAD src0_sel:WORD_1 src1_sel:DWORD
	v_fma_f16 v48, v0, v31, v48
	v_mul_f16_sdwa v31, v0, v31 dst_sel:DWORD dst_unused:UNUSED_PAD src0_sel:WORD_1 src1_sel:DWORD
	v_fma_f16 v31, v0, v49, -v31
	v_mul_f16_sdwa v0, v1, v50 dst_sel:DWORD dst_unused:UNUSED_PAD src0_sel:WORD_1 src1_sel:DWORD
	v_fma_f16 v49, v1, v32, v0
	v_mul_f16_sdwa v0, v1, v32 dst_sel:DWORD dst_unused:UNUSED_PAD src0_sel:WORD_1 src1_sel:DWORD
	v_fma_f16 v32, v1, v50, -v0
	v_lshrrev_b32_e32 v0, 16, v33
	v_mul_f16_sdwa v1, v2, v0 dst_sel:DWORD dst_unused:UNUSED_PAD src0_sel:WORD_1 src1_sel:DWORD
	v_fma_f16 v50, v2, v33, v1
	v_mul_f16_sdwa v1, v2, v33 dst_sel:DWORD dst_unused:UNUSED_PAD src0_sel:WORD_1 src1_sel:DWORD
	v_fma_f16 v33, v2, v0, -v1
	v_mul_f16_sdwa v0, v3, v67 dst_sel:DWORD dst_unused:UNUSED_PAD src0_sel:WORD_1 src1_sel:DWORD
	v_fma_f16 v66, v3, v34, v0
	v_mul_f16_sdwa v0, v3, v34 dst_sel:DWORD dst_unused:UNUSED_PAD src0_sel:WORD_1 src1_sel:DWORD
	v_fma_f16 v34, v3, v67, -v0
	v_mul_f16_sdwa v0, v4, v68 dst_sel:DWORD dst_unused:UNUSED_PAD src0_sel:WORD_1 src1_sel:DWORD
	v_fma_f16 v67, v4, v35, v0
	v_mul_f16_sdwa v0, v4, v35 dst_sel:DWORD dst_unused:UNUSED_PAD src0_sel:WORD_1 src1_sel:DWORD
	v_fma_f16 v35, v4, v68, -v0
	v_mul_f16_sdwa v0, v5, v72 dst_sel:DWORD dst_unused:UNUSED_PAD src0_sel:WORD_1 src1_sel:DWORD
	v_fma_f16 v68, v5, v36, v0
	v_mul_f16_sdwa v0, v5, v36 dst_sel:DWORD dst_unused:UNUSED_PAD src0_sel:WORD_1 src1_sel:DWORD
	v_fma_f16 v36, v5, v72, -v0
	v_mul_f16_sdwa v0, v6, v70 dst_sel:DWORD dst_unused:UNUSED_PAD src0_sel:WORD_1 src1_sel:DWORD
	v_fma_f16 v69, v6, v37, v0
	v_mul_f16_sdwa v0, v6, v37 dst_sel:DWORD dst_unused:UNUSED_PAD src0_sel:WORD_1 src1_sel:DWORD
	v_fma_f16 v37, v6, v70, -v0
	v_mul_f16_sdwa v0, v7, v71 dst_sel:DWORD dst_unused:UNUSED_PAD src0_sel:WORD_1 src1_sel:DWORD
	v_fma_f16 v70, v7, v28, v0
	v_mul_f16_sdwa v0, v7, v28 dst_sel:DWORD dst_unused:UNUSED_PAD src0_sel:WORD_1 src1_sel:DWORD
	v_fma_f16 v28, v7, v71, -v0
	v_mul_f16_sdwa v0, v22, v65 dst_sel:DWORD dst_unused:UNUSED_PAD src0_sel:WORD_1 src1_sel:DWORD
	v_fma_f16 v71, v22, v29, v0
	v_mul_f16_sdwa v0, v22, v29 dst_sel:DWORD dst_unused:UNUSED_PAD src0_sel:WORD_1 src1_sel:DWORD
	v_fma_f16 v22, v22, v65, -v0
	v_mul_f16_sdwa v0, v23, v64 dst_sel:DWORD dst_unused:UNUSED_PAD src0_sel:WORD_1 src1_sel:DWORD
	v_fma_f16 v29, v23, v63, v0
	v_mul_f16_sdwa v0, v23, v63 dst_sel:DWORD dst_unused:UNUSED_PAD src0_sel:WORD_1 src1_sel:DWORD
	v_fma_f16 v23, v23, v64, -v0
	v_sub_f16_e32 v91, v31, v23
	v_add_f16_e32 v81, v29, v48
	v_add_f16_e32 v83, v23, v31
	s_movk_i32 s14, 0x3abb
	v_mul_f16_e32 v63, 0xb853, v91
	v_sub_f16_e32 v103, v32, v22
	v_sub_f16_e32 v97, v48, v29
	s_mov_b32 s6, 0xb853
	v_mul_f16_e32 v64, 0x3abb, v83
	v_fma_f16 v0, v81, s14, -v63
	s_movk_i32 s15, 0x36a6
	v_add_f16_e32 v92, v71, v49
	v_add_f16_e32 v98, v22, v32
	v_mul_f16_e32 v72, 0xbb47, v103
	v_add_f16_e32 v0, v30, v0
	v_fma_f16 v1, v97, s6, v64
	s_mov_b32 s7, 0xbb47
	v_sub_f16_e32 v109, v49, v71
	v_mul_f16_e32 v74, 0x36a6, v98
	v_fma_f16 v76, v92, s15, -v72
	v_add_f16_sdwa v1, v30, v1 dst_sel:DWORD dst_unused:UNUSED_PAD src0_sel:WORD_1 src1_sel:DWORD
	v_mul_f16_e32 v65, 0xbb47, v91
	v_add_f16_e32 v0, v76, v0
	v_fma_f16 v76, v109, s7, v74
	v_mul_f16_e32 v73, 0x36a6, v83
	v_fma_f16 v2, v81, s15, -v65
	s_mov_b32 s17, 0xb93d
	v_add_f16_e32 v1, v76, v1
	v_mul_f16_e32 v76, 0xba0c, v103
	v_add_f16_e32 v2, v30, v2
	v_fma_f16 v3, v97, s7, v73
	s_mov_b32 s16, 0xb08e
	v_mul_f16_e32 v75, 0xbbeb, v91
	s_mov_b32 s20, 0xba0c
	v_mul_f16_e32 v79, 0xb93d, v98
	v_fma_f16 v77, v92, s17, -v76
	v_add_f16_sdwa v3, v30, v3 dst_sel:DWORD dst_unused:UNUSED_PAD src0_sel:WORD_1 src1_sel:DWORD
	s_mov_b32 s19, 0xbbeb
	v_mul_f16_e32 v78, 0xb08e, v83
	v_fma_f16 v4, v81, s16, -v75
	v_add_f16_e32 v2, v77, v2
	v_fma_f16 v77, v109, s20, v79
	s_mov_b32 s18, 0xbbad
	v_mul_f16_e32 v84, 0x3482, v103
	v_add_f16_e32 v4, v30, v4
	v_fma_f16 v5, v97, s19, v78
	v_mul_f16_e32 v82, 0xba0c, v91
	v_add_f16_e32 v3, v77, v3
	s_movk_i32 s7, 0x3482
	v_mul_f16_e32 v88, 0xbbad, v98
	v_fma_f16 v77, v92, s18, -v84
	v_add_f16_sdwa v5, v30, v5 dst_sel:DWORD dst_unused:UNUSED_PAD src0_sel:WORD_1 src1_sel:DWORD
	v_mul_f16_e32 v87, 0xb93d, v83
	v_fma_f16 v6, v81, s17, -v82
	v_add_f16_e32 v4, v77, v4
	v_fma_f16 v77, v109, s7, v88
	v_mul_f16_e32 v93, 0x3beb, v103
	v_add_f16_e32 v6, v30, v6
	v_fma_f16 v7, v97, s20, v87
	v_add_f16_e32 v5, v77, v5
	s_movk_i32 s21, 0x3beb
	v_mul_f16_e32 v99, 0xb08e, v98
	v_fma_f16 v77, v92, s16, -v93
	v_add_f16_sdwa v7, v30, v7 dst_sel:DWORD dst_unused:UNUSED_PAD src0_sel:WORD_1 src1_sel:DWORD
	v_add_f16_e32 v6, v77, v6
	v_fma_f16 v77, v109, s21, v99
	v_sub_f16_e32 v113, v33, v28
	v_add_f16_e32 v7, v77, v7
	v_add_f16_e32 v104, v70, v50
	v_add_f16_e32 v108, v28, v33
	v_mul_f16_e32 v77, 0xbbeb, v113
	v_sub_f16_e32 v118, v50, v70
	v_mul_f16_e32 v80, 0xb08e, v108
	v_fma_f16 v85, v104, s16, -v77
	v_add_f16_e32 v0, v85, v0
	v_fma_f16 v85, v118, s19, v80
	v_add_f16_e32 v1, v85, v1
	v_mul_f16_e32 v85, 0x3482, v113
	v_mul_f16_e32 v89, 0xbbad, v108
	v_fma_f16 v86, v104, s18, -v85
	v_add_f16_e32 v2, v86, v2
	v_fma_f16 v86, v118, s7, v89
	v_mul_f16_e32 v94, 0x3b47, v113
	v_add_f16_e32 v3, v86, v3
	s_movk_i32 s7, 0x3b47
	v_mul_f16_e32 v100, 0x36a6, v108
	v_fma_f16 v86, v104, s15, -v94
	v_add_f16_e32 v4, v86, v4
	v_fma_f16 v86, v118, s7, v100
	v_mul_f16_e32 v105, 0xb853, v113
	v_add_f16_e32 v5, v86, v5
	v_mul_f16_e32 v110, 0x3abb, v108
	v_fma_f16 v86, v104, s14, -v105
	v_add_f16_e32 v6, v86, v6
	v_fma_f16 v86, v118, s6, v110
	v_sub_f16_e32 v121, v34, v37
	v_add_f16_e32 v7, v86, v7
	v_add_f16_e32 v114, v69, v66
	;; [unrolled: 1-line block ×3, first 2 shown]
	v_mul_f16_e32 v86, 0xba0c, v121
	v_sub_f16_e32 v125, v66, v69
	v_mul_f16_e32 v90, 0xb93d, v117
	v_fma_f16 v95, v114, s17, -v86
	v_add_f16_e32 v0, v95, v0
	v_fma_f16 v95, v125, s20, v90
	v_add_f16_e32 v1, v95, v1
	v_mul_f16_e32 v95, 0x3beb, v121
	v_mul_f16_e32 v101, 0xb08e, v117
	v_fma_f16 v96, v114, s16, -v95
	v_add_f16_e32 v116, v96, v2
	v_fma_f16 v2, v125, s21, v101
	v_mul_f16_e32 v106, 0xb853, v121
	v_add_f16_e32 v3, v2, v3
	v_mul_f16_e32 v111, 0x3abb, v117
	v_fma_f16 v2, v114, s14, -v106
	v_add_f16_e32 v123, v2, v4
	v_fma_f16 v2, v125, s6, v111
	v_mul_f16_e32 v115, 0xb482, v121
	v_add_f16_e32 v126, v2, v5
	s_mov_b32 s6, 0xb482
	v_mul_f16_e32 v119, 0xbbad, v117
	v_fma_f16 v2, v114, s18, -v115
	v_sub_f16_e32 v127, v35, v36
	v_add_f16_e32 v6, v2, v6
	v_fma_f16 v2, v125, s6, v119
	v_add_f16_e32 v122, v68, v67
	v_add_f16_e32 v124, v36, v35
	v_mul_f16_e32 v96, 0xb482, v127
	v_add_f16_e32 v129, v2, v7
	v_sub_f16_e32 v128, v67, v68
	v_mul_f16_e32 v102, 0xbbad, v124
	v_fma_f16 v2, v122, s18, -v96
	v_add_f16_e32 v2, v2, v0
	v_fma_f16 v0, v128, s6, v102
	v_mul_f16_e32 v107, 0x3853, v127
	v_add_f16_e32 v5, v0, v1
	s_movk_i32 s6, 0x3853
	v_mul_f16_e32 v112, 0x3abb, v124
	v_fma_f16 v0, v122, s14, -v107
	v_add_f16_e32 v1, v0, v116
	v_fma_f16 v0, v128, s6, v112
	v_mul_f16_e32 v116, 0xba0c, v127
	v_add_f16_e32 v4, v0, v3
	v_mul_f16_e32 v120, 0xb93d, v124
	v_fma_f16 v0, v122, s17, -v116
	v_add_f16_e32 v3, v0, v123
	v_fma_f16 v0, v128, s20, v120
	v_mul_f16_e32 v123, 0x3b47, v127
	v_add_f16_e32 v7, v0, v126
	v_mul_f16_e32 v126, 0x36a6, v124
	v_fma_f16 v0, v122, s15, -v123
	v_add_f16_e32 v0, v0, v6
	v_fma_f16 v6, v128, s7, v126
	v_add_f16_e32 v6, v6, v129
	s_barrier
	s_and_saveexec_b64 s[6:7], s[2:3]
	s_cbranch_execz .LBB0_25
; %bb.24:
	v_mul_f16_e32 v130, 0xb853, v97
	v_mul_f16_e32 v132, 0xbb47, v97
	;; [unrolled: 1-line block ×9, first 2 shown]
	v_fma_f16 v169, v83, s18, v97
	v_mul_f16_e32 v109, 0x3853, v109
	v_mul_f16_e32 v146, 0xbbeb, v118
	;; [unrolled: 1-line block ×5, first 2 shown]
	v_add_f16_sdwa v169, v30, v169 dst_sel:DWORD dst_unused:UNUSED_PAD src0_sel:WORD_1 src1_sel:DWORD
	v_fma_f16 v170, v98, s14, v109
	v_mul_f16_e32 v118, 0xba0c, v118
	v_mul_f16_e32 v154, 0xba0c, v125
	;; [unrolled: 1-line block ×5, first 2 shown]
	v_add_f16_e32 v169, v170, v169
	v_fma_f16 v170, v108, s17, v118
	v_mul_f16_e32 v125, 0x3b47, v125
	v_mul_f16_e32 v162, 0xb482, v128
	;; [unrolled: 1-line block ×5, first 2 shown]
	v_add_f16_e32 v169, v170, v169
	v_fma_f16 v170, v117, s15, v125
	v_mul_f16_e32 v128, 0xbbeb, v128
	v_add_f16_e32 v169, v170, v169
	v_fma_f16 v170, v124, s16, v128
	v_mul_f16_e32 v91, 0xb482, v91
	v_mul_f16_e32 v129, 0x3abb, v81
	;; [unrolled: 1-line block ×5, first 2 shown]
	v_add_f16_e32 v169, v170, v169
	v_fma_f16 v170, v81, s18, -v91
	v_mul_f16_e32 v103, 0x3853, v103
	v_fma_f16 v81, v81, s18, v91
	v_mul_f16_e32 v113, 0xba0c, v113
	v_fma_f16 v83, v83, s18, -v97
	v_add_f16_e32 v81, v30, v81
	v_fma_f16 v91, v92, s14, v103
	v_sub_f16_e32 v87, v87, v136
	v_add_f16_e32 v82, v135, v82
	v_sub_f16_e32 v78, v78, v134
	v_add_f16_e32 v75, v133, v75
	;; [unrolled: 2-line block ×4, first 2 shown]
	v_add_f16_e32 v170, v30, v170
	v_mul_f16_e32 v121, 0x3b47, v121
	v_add_f16_sdwa v83, v30, v83 dst_sel:DWORD dst_unused:UNUSED_PAD src0_sel:WORD_1 src1_sel:DWORD
	v_add_f16_e32 v81, v91, v81
	v_fma_f16 v91, v104, s17, v113
	v_add_f16_sdwa v87, v30, v87 dst_sel:DWORD dst_unused:UNUSED_PAD src0_sel:WORD_1 src1_sel:DWORD
	v_add_f16_e32 v82, v30, v82
	v_add_f16_sdwa v78, v30, v78 dst_sel:DWORD dst_unused:UNUSED_PAD src0_sel:WORD_1 src1_sel:DWORD
	v_add_f16_e32 v75, v30, v75
	;; [unrolled: 2-line block ×4, first 2 shown]
	v_add_f16_e32 v48, v30, v48
	v_add_f16_sdwa v30, v31, v30 dst_sel:DWORD dst_unused:UNUSED_PAD src0_sel:DWORD src1_sel:WORD_1
	v_mul_f16_e32 v127, 0xbbeb, v127
	v_add_f16_e32 v81, v91, v81
	v_fma_f16 v91, v114, s15, v121
	v_add_f16_e32 v48, v49, v48
	v_add_f16_e32 v30, v32, v30
	;; [unrolled: 1-line block ×3, first 2 shown]
	v_fma_f16 v91, v122, s16, v127
	v_add_f16_e32 v48, v50, v48
	v_add_f16_e32 v30, v33, v30
	;; [unrolled: 1-line block ×3, first 2 shown]
	v_sub_f16_e32 v91, v99, v144
	v_add_f16_e32 v48, v66, v48
	v_add_f16_e32 v30, v34, v30
	v_mul_f16_e32 v137, 0x36a6, v92
	v_add_f16_e32 v87, v91, v87
	v_sub_f16_e32 v91, v110, v152
	v_add_f16_e32 v48, v67, v48
	v_add_f16_e32 v30, v35, v30
	v_mul_f16_e32 v139, 0xb93d, v92
	v_mul_f16_e32 v141, 0xbbad, v92
	;; [unrolled: 1-line block ×3, first 2 shown]
	v_add_f16_e32 v87, v91, v87
	v_sub_f16_e32 v91, v119, v160
	v_sub_f16_e32 v74, v74, v138
	v_add_f16_e32 v72, v137, v72
	v_add_f16_e32 v48, v68, v48
	;; [unrolled: 1-line block ×3, first 2 shown]
	v_mul_f16_e32 v143, 0xb08e, v92
	v_mul_f16_e32 v147, 0xbbad, v104
	;; [unrolled: 1-line block ×4, first 2 shown]
	v_add_f16_e32 v87, v91, v87
	v_sub_f16_e32 v91, v126, v168
	v_sub_f16_e32 v88, v88, v142
	v_add_f16_e32 v84, v141, v84
	v_sub_f16_e32 v79, v79, v140
	v_add_f16_e32 v76, v139, v76
	v_add_f16_e32 v64, v74, v64
	v_sub_f16_e32 v74, v80, v146
	v_add_f16_e32 v63, v72, v63
	v_add_f16_e32 v72, v145, v77
	;; [unrolled: 1-line block ×4, first 2 shown]
	v_mul_f16_e32 v151, 0x3abb, v104
	v_mul_f16_e32 v155, 0xb08e, v114
	;; [unrolled: 1-line block ×4, first 2 shown]
	v_fma_f16 v97, v98, s14, -v109
	v_add_f16_e32 v87, v91, v87
	v_add_f16_e32 v91, v143, v93
	v_add_f16_e32 v78, v88, v78
	v_sub_f16_e32 v88, v100, v150
	v_add_f16_e32 v75, v84, v75
	v_add_f16_e32 v84, v149, v94
	v_add_f16_e32 v73, v79, v73
	v_sub_f16_e32 v79, v89, v148
	;; [unrolled: 4-line block ×3, first 2 shown]
	v_add_f16_e32 v63, v72, v63
	v_add_f16_e32 v72, v153, v86
	;; [unrolled: 1-line block ×4, first 2 shown]
	v_mul_f16_e32 v159, 0xbbad, v114
	v_mul_f16_e32 v163, 0x3abb, v122
	;; [unrolled: 1-line block ×3, first 2 shown]
	v_fma_f16 v171, v92, s14, -v103
	v_add_f16_e32 v83, v97, v83
	v_fma_f16 v97, v108, s17, -v118
	v_add_f16_e32 v82, v91, v82
	v_add_f16_e32 v91, v151, v105
	v_add_f16_e32 v78, v88, v78
	v_sub_f16_e32 v88, v111, v158
	v_add_f16_e32 v75, v84, v75
	v_add_f16_e32 v84, v157, v106
	v_add_f16_e32 v73, v79, v73
	v_sub_f16_e32 v79, v101, v156
	v_add_f16_e32 v65, v76, v65
	v_add_f16_e32 v76, v155, v95
	v_add_f16_e32 v64, v74, v64
	v_sub_f16_e32 v74, v102, v162
	v_add_f16_e32 v63, v72, v63
	v_add_f16_e32 v72, v161, v96
	;; [unrolled: 1-line block ×4, first 2 shown]
	v_mul_f16_e32 v167, 0x36a6, v122
	v_add_f16_e32 v170, v171, v170
	v_fma_f16 v171, v104, s17, -v113
	v_add_f16_e32 v83, v97, v83
	v_fma_f16 v97, v117, s15, -v125
	v_add_f16_e32 v82, v91, v82
	v_add_f16_e32 v91, v159, v115
	v_add_f16_e32 v78, v88, v78
	v_sub_f16_e32 v88, v120, v166
	v_add_f16_e32 v75, v84, v75
	v_add_f16_e32 v84, v165, v116
	;; [unrolled: 1-line block ×3, first 2 shown]
	v_sub_f16_e32 v79, v112, v164
	v_add_f16_e32 v65, v76, v65
	v_add_f16_e32 v76, v163, v107
	;; [unrolled: 1-line block ×7, first 2 shown]
	v_fma_f16 v171, v114, s15, -v121
	v_add_f16_e32 v83, v97, v83
	v_fma_f16 v97, v124, s16, -v128
	v_add_f16_e32 v82, v91, v82
	v_add_f16_e32 v91, v167, v123
	;; [unrolled: 1-line block ×6, first 2 shown]
	v_add_lshl_u32 v23, v47, v46, 2
	v_pack_b32_f16 v22, v29, v22
	v_pack_b32_f16 v28, v63, v64
	v_add_f16_e32 v170, v171, v170
	v_fma_f16 v171, v122, s16, -v127
	v_add_f16_e32 v83, v97, v83
	v_add_f16_e32 v82, v91, v82
	ds_write2_b32 v23, v22, v28 offset1:3
	v_pack_b32_f16 v22, v65, v73
	v_pack_b32_f16 v28, v75, v78
	v_add_f16_e32 v170, v171, v170
	ds_write2_b32 v23, v22, v28 offset0:6 offset1:9
	v_pack_b32_f16 v22, v82, v87
	v_pack_b32_f16 v28, v81, v83
	s_mov_b32 s2, 0x5040100
	ds_write2_b32 v23, v22, v28 offset0:12 offset1:15
	v_pack_b32_f16 v22, v170, v169
	v_perm_b32 v28, v6, v0, s2
	ds_write2_b32 v23, v22, v28 offset0:18 offset1:21
	v_perm_b32 v22, v7, v3, s2
	v_perm_b32 v28, v4, v1, s2
	ds_write2_b32 v23, v22, v28 offset0:24 offset1:27
	v_perm_b32 v22, v5, v2, s2
	ds_write_b32 v23, v22 offset:120
.LBB0_25:
	s_or_b64 exec, exec, s[6:7]
	s_waitcnt lgkmcnt(0)
	s_barrier
	ds_read_b32 v22, v38
	ds_read_b32 v32, v38 offset:1056
	ds_read_b32 v31, v38 offset:2112
	;; [unrolled: 1-line block ×6, first 2 shown]
	s_and_saveexec_b64 s[2:3], s[4:5]
	s_cbranch_execz .LBB0_27
; %bb.26:
	ds_read_b32 v0, v38 offset:924
	ds_read_b32 v3, v38 offset:1980
	;; [unrolled: 1-line block ×7, first 2 shown]
	s_waitcnt lgkmcnt(6)
	v_lshrrev_b32_e32 v6, 16, v0
	s_waitcnt lgkmcnt(5)
	v_lshrrev_b32_e32 v7, 16, v3
	;; [unrolled: 2-line block ×7, first 2 shown]
.LBB0_27:
	s_or_b64 exec, exec, s[2:3]
	s_waitcnt lgkmcnt(5)
	v_lshrrev_b32_e32 v33, 16, v32
	v_mul_f16_sdwa v47, v12, v33 dst_sel:DWORD dst_unused:UNUSED_PAD src0_sel:WORD_1 src1_sel:DWORD
	s_waitcnt lgkmcnt(4)
	v_lshrrev_b32_e32 v34, 16, v31
	v_fma_f16 v47, v12, v32, v47
	v_mul_f16_sdwa v32, v12, v32 dst_sel:DWORD dst_unused:UNUSED_PAD src0_sel:WORD_1 src1_sel:DWORD
	v_fma_f16 v12, v12, v33, -v32
	v_mul_f16_sdwa v32, v13, v34 dst_sel:DWORD dst_unused:UNUSED_PAD src0_sel:WORD_1 src1_sel:DWORD
	s_waitcnt lgkmcnt(3)
	v_lshrrev_b32_e32 v35, 16, v30
	v_fma_f16 v32, v13, v31, v32
	v_mul_f16_sdwa v31, v13, v31 dst_sel:DWORD dst_unused:UNUSED_PAD src0_sel:WORD_1 src1_sel:DWORD
	v_fma_f16 v13, v13, v34, -v31
	;; [unrolled: 6-line block ×5, first 2 shown]
	v_mul_f16_sdwa v28, v27, v46 dst_sel:DWORD dst_unused:UNUSED_PAD src0_sel:WORD_1 src1_sel:DWORD
	v_fma_f16 v28, v27, v23, v28
	v_mul_f16_sdwa v23, v27, v23 dst_sel:DWORD dst_unused:UNUSED_PAD src0_sel:WORD_1 src1_sel:DWORD
	v_fma_f16 v23, v27, v46, -v23
	v_add_f16_e32 v27, v47, v28
	v_add_f16_e32 v33, v12, v23
	v_sub_f16_e32 v12, v12, v23
	v_add_f16_e32 v23, v32, v29
	v_add_f16_e32 v34, v13, v26
	v_sub_f16_e32 v28, v47, v28
	v_sub_f16_e32 v29, v32, v29
	;; [unrolled: 1-line block ×3, first 2 shown]
	v_add_f16_e32 v26, v31, v30
	v_add_f16_e32 v32, v14, v15
	v_sub_f16_e32 v30, v30, v31
	v_sub_f16_e32 v14, v15, v14
	v_add_f16_e32 v15, v23, v27
	v_add_f16_e32 v31, v34, v33
	v_sub_f16_e32 v35, v23, v27
	v_sub_f16_e32 v36, v34, v33
	v_sub_f16_e32 v27, v27, v26
	v_sub_f16_e32 v33, v33, v32
	v_sub_f16_e32 v23, v26, v23
	v_sub_f16_e32 v34, v32, v34
	v_add_f16_e32 v37, v30, v29
	v_add_f16_e32 v46, v14, v13
	v_sub_f16_e32 v47, v30, v29
	v_sub_f16_e32 v48, v14, v13
	;; [unrolled: 1-line block ×4, first 2 shown]
	v_add_f16_e32 v15, v26, v15
	v_add_f16_e32 v26, v32, v31
	v_sub_f16_e32 v30, v28, v30
	v_sub_f16_e32 v14, v12, v14
	v_add_f16_e32 v28, v37, v28
	v_add_f16_e32 v12, v46, v12
	v_add_f16_e32 v31, v22, v15
	v_add_f16_sdwa v22, v22, v26 dst_sel:DWORD dst_unused:UNUSED_PAD src0_sel:WORD_1 src1_sel:DWORD
	v_mul_f16_e32 v27, 0x3a52, v27
	v_mul_f16_e32 v32, 0x3a52, v33
	s_movk_i32 s17, 0x2b26
	v_mul_f16_e32 v33, 0x2b26, v23
	v_mul_f16_e32 v37, 0x2b26, v34
	;; [unrolled: 1-line block ×4, first 2 shown]
	s_mov_b32 s6, 0xbb00
	v_mul_f16_e32 v48, 0xbb00, v29
	v_mul_f16_e32 v49, 0xbb00, v13
	s_mov_b32 s18, 0xbcab
	s_movk_i32 s7, 0x39e0
	s_mov_b32 s14, 0xb9e0
	s_mov_b32 s19, 0xb574
	s_movk_i32 s15, 0x3574
	v_fma_f16 v15, v15, s18, v31
	v_fma_f16 v26, v26, s18, v22
	v_fma_f16 v23, v23, s17, v27
	v_fma_f16 v34, v34, s17, v32
	v_fma_f16 v33, v35, s7, -v33
	v_fma_f16 v37, v36, s7, -v37
	;; [unrolled: 1-line block ×4, first 2 shown]
	v_fma_f16 v35, v30, s19, v46
	v_fma_f16 v36, v14, s19, v47
	v_fma_f16 v29, v29, s6, -v46
	v_fma_f16 v13, v13, s6, -v47
	;; [unrolled: 1-line block ×4, first 2 shown]
	s_mov_b32 s16, 0xb70e
	v_add_f16_e32 v23, v23, v15
	v_add_f16_e32 v34, v34, v26
	;; [unrolled: 1-line block ×6, first 2 shown]
	v_fma_f16 v27, v28, s16, v35
	v_fma_f16 v32, v12, s16, v36
	;; [unrolled: 1-line block ×6, first 2 shown]
	v_add_f16_e32 v14, v32, v23
	v_sub_f16_e32 v30, v34, v27
	v_add_f16_e32 v35, v12, v15
	v_sub_f16_e32 v46, v33, v13
	v_add_f16_e32 v47, v29, v37
	v_add_f16_e32 v13, v13, v33
	v_sub_f16_e32 v29, v37, v29
	v_sub_f16_e32 v12, v15, v12
	v_add_f16_e32 v15, v28, v26
	v_sub_f16_e32 v36, v26, v28
	v_sub_f16_e32 v23, v23, v32
	v_add_f16_e32 v26, v27, v34
	v_pack_b32_f16 v22, v31, v22
	v_pack_b32_f16 v14, v14, v30
	;; [unrolled: 1-line block ×4, first 2 shown]
	s_barrier
	ds_write2_b32 v62, v22, v14 offset1:33
	v_pack_b32_f16 v14, v35, v36
	v_pack_b32_f16 v22, v46, v47
	ds_write2_b32 v62, v13, v12 offset0:132 offset1:165
	v_pack_b32_f16 v12, v23, v26
	ds_write2_b32 v62, v14, v22 offset0:66 offset1:99
	ds_write_b32 v62, v12 offset:792
	s_and_saveexec_b64 s[2:3], s[4:5]
	s_cbranch_execz .LBB0_29
; %bb.28:
	v_mul_f16_sdwa v22, v10, v5 dst_sel:DWORD dst_unused:UNUSED_PAD src0_sel:WORD_1 src1_sel:DWORD
	v_fma_f16 v22, v10, v2, v22
	v_mul_f16_sdwa v2, v10, v2 dst_sel:DWORD dst_unused:UNUSED_PAD src0_sel:WORD_1 src1_sel:DWORD
	v_mul_f16_sdwa v12, v8, v7 dst_sel:DWORD dst_unused:UNUSED_PAD src0_sel:WORD_1 src1_sel:DWORD
	v_mul_f16_sdwa v15, v11, v56 dst_sel:DWORD dst_unused:UNUSED_PAD src0_sel:WORD_1 src1_sel:DWORD
	v_mul_f16_sdwa v27, v9, v4 dst_sel:DWORD dst_unused:UNUSED_PAD src0_sel:WORD_1 src1_sel:DWORD
	v_fma_f16 v2, v10, v5, -v2
	v_mul_f16_sdwa v5, v11, v52 dst_sel:DWORD dst_unused:UNUSED_PAD src0_sel:WORD_1 src1_sel:DWORD
	v_fma_f16 v12, v8, v3, v12
	v_mul_f16_sdwa v13, v25, v61 dst_sel:DWORD dst_unused:UNUSED_PAD src0_sel:WORD_1 src1_sel:DWORD
	v_fma_f16 v15, v11, v52, v15
	v_fma_f16 v27, v9, v1, v27
	v_mul_f16_sdwa v32, v25, v60 dst_sel:DWORD dst_unused:UNUSED_PAD src0_sel:WORD_1 src1_sel:DWORD
	v_mul_f16_sdwa v3, v8, v3 dst_sel:DWORD dst_unused:UNUSED_PAD src0_sel:WORD_1 src1_sel:DWORD
	v_fma_f16 v5, v11, v56, -v5
	v_mul_f16_sdwa v11, v24, v53 dst_sel:DWORD dst_unused:UNUSED_PAD src0_sel:WORD_1 src1_sel:DWORD
	v_mul_f16_sdwa v1, v9, v1 dst_sel:DWORD dst_unused:UNUSED_PAD src0_sel:WORD_1 src1_sel:DWORD
	v_fma_f16 v13, v25, v60, v13
	v_mul_f16_sdwa v28, v24, v55 dst_sel:DWORD dst_unused:UNUSED_PAD src0_sel:WORD_1 src1_sel:DWORD
	v_fma_f16 v25, v25, v61, -v32
	v_fma_f16 v3, v8, v7, -v3
	;; [unrolled: 1-line block ×4, first 2 shown]
	v_fma_f16 v28, v24, v53, v28
	v_add_f16_e32 v7, v25, v3
	v_add_f16_e32 v4, v11, v1
	v_sub_f16_e32 v14, v12, v13
	v_sub_f16_e32 v23, v15, v22
	;; [unrolled: 1-line block ×3, first 2 shown]
	v_add_f16_e32 v8, v2, v5
	v_add_f16_e32 v32, v4, v7
	;; [unrolled: 1-line block ×5, first 2 shown]
	v_sub_f16_e32 v3, v3, v25
	v_sub_f16_e32 v2, v5, v2
	;; [unrolled: 1-line block ×5, first 2 shown]
	v_add_f16_e32 v23, v23, v29
	v_sub_f16_e32 v10, v7, v8
	v_sub_f16_e32 v9, v8, v4
	v_add_f16_e32 v8, v8, v32
	v_add_f16_e32 v33, v22, v12
	v_sub_f16_e32 v5, v3, v2
	v_sub_f16_e32 v11, v2, v1
	v_add_f16_e32 v2, v2, v1
	v_sub_f16_e32 v1, v1, v3
	v_add_f16_e32 v23, v23, v14
	v_mul_f16_e32 v10, 0x3a52, v10
	v_mul_f16_e32 v24, 0x2b26, v9
	v_add_f16_e32 v6, v6, v8
	v_sub_f16_e32 v15, v12, v13
	v_sub_f16_e32 v27, v13, v22
	v_add_f16_e32 v13, v13, v33
	v_mul_f16_e32 v11, 0x3846, v11
	v_add_f16_e32 v2, v2, v3
	v_sub_f16_e32 v14, v29, v14
	v_sub_f16_e32 v4, v4, v7
	v_mul_f16_e32 v3, 0xbb00, v1
	v_mul_f16_e32 v30, 0x3846, v30
	v_fma_f16 v9, v9, s17, v10
	v_fma_f16 v8, v8, s18, v6
	v_mul_f16_e32 v15, 0x3a52, v15
	v_mul_f16_e32 v28, 0x2b26, v27
	v_add_f16_e32 v0, v0, v13
	v_fma_f16 v25, v5, s19, v11
	v_mul_f16_e32 v29, 0xbb00, v14
	v_fma_f16 v7, v4, s14, -v10
	v_sub_f16_e32 v12, v22, v12
	v_fma_f16 v3, v5, s15, -v3
	v_fma_f16 v4, v4, s7, -v24
	v_fma_f16 v1, v1, s6, -v11
	v_fma_f16 v31, v26, s19, v30
	v_add_f16_e32 v9, v9, v8
	v_fma_f16 v27, v27, s17, v15
	v_fma_f16 v13, v13, s18, v0
	v_fma_f16 v25, v2, s16, v25
	v_fma_f16 v26, v26, s15, -v29
	v_add_f16_e32 v7, v7, v8
	v_fma_f16 v3, v2, s16, v3
	v_add_f16_e32 v4, v4, v8
	v_fma_f16 v8, v14, s6, -v30
	v_fma_f16 v1, v2, s16, v1
	v_fma_f16 v2, v12, s7, -v28
	v_fma_f16 v31, v23, s16, v31
	v_add_f16_e32 v27, v27, v13
	v_fma_f16 v26, v23, s16, v26
	v_fma_f16 v15, v12, s14, -v15
	v_fma_f16 v8, v23, s16, v8
	v_add_f16_e32 v2, v2, v13
	v_add_f16_e32 v10, v26, v7
	;; [unrolled: 1-line block ×3, first 2 shown]
	v_sub_f16_e32 v14, v4, v8
	v_add_f16_e32 v11, v1, v2
	v_add_f16_e32 v4, v8, v4
	v_sub_f16_e32 v1, v2, v1
	v_sub_f16_e32 v2, v7, v26
	;; [unrolled: 1-line block ×3, first 2 shown]
	v_add_f16_e32 v8, v25, v27
	v_sub_f16_e32 v5, v15, v3
	v_add_f16_e32 v3, v3, v15
	v_pack_b32_f16 v0, v0, v6
	v_pack_b32_f16 v6, v8, v7
	v_add_u32_e32 v7, 0x1800, v51
	ds_write2_b32 v7, v0, v6 offset0:81 offset1:114
	v_pack_b32_f16 v0, v3, v2
	v_pack_b32_f16 v1, v1, v4
	v_add_f16_e32 v32, v31, v9
	v_sub_f16_e32 v33, v27, v25
	ds_write2_b32 v7, v0, v1 offset0:147 offset1:180
	v_pack_b32_f16 v0, v11, v14
	v_pack_b32_f16 v1, v5, v10
	ds_write2_b32 v7, v0, v1 offset0:213 offset1:246
	v_pack_b32_f16 v0, v33, v32
	ds_write_b32 v51, v0 offset:7260
.LBB0_29:
	s_or_b64 exec, exec, s[2:3]
	v_add_u32_e32 v8, 0x700, v38
	s_waitcnt lgkmcnt(0)
	s_barrier
	ds_read2_b32 v[2:3], v8 offset0:14 offset1:245
	v_add_u32_e32 v9, 0xe40, v38
	ds_read2_b32 v[4:5], v9 offset0:12 offset1:243
	v_add_u32_e32 v10, 0x1580, v38
	ds_read2_b32 v[6:7], v10 offset0:10 offset1:241
	s_waitcnt lgkmcnt(2)
	v_lshrrev_b32_e32 v12, 16, v2
	v_mul_f16_sdwa v25, v16, v12 dst_sel:DWORD dst_unused:UNUSED_PAD src0_sel:WORD_1 src1_sel:DWORD
	s_waitcnt lgkmcnt(1)
	v_lshrrev_b32_e32 v13, 16, v4
	v_fma_f16 v25, v16, v2, v25
	v_mul_f16_sdwa v2, v16, v2 dst_sel:DWORD dst_unused:UNUSED_PAD src0_sel:WORD_1 src1_sel:DWORD
	v_fma_f16 v2, v16, v12, -v2
	v_mul_f16_sdwa v12, v17, v13 dst_sel:DWORD dst_unused:UNUSED_PAD src0_sel:WORD_1 src1_sel:DWORD
	s_waitcnt lgkmcnt(0)
	v_lshrrev_b32_e32 v14, 16, v6
	v_fma_f16 v12, v17, v4, v12
	v_mul_f16_sdwa v4, v17, v4 dst_sel:DWORD dst_unused:UNUSED_PAD src0_sel:WORD_1 src1_sel:DWORD
	v_fma_f16 v4, v17, v13, -v4
	v_mul_f16_sdwa v13, v18, v14 dst_sel:DWORD dst_unused:UNUSED_PAD src0_sel:WORD_1 src1_sel:DWORD
	ds_read2_b32 v[0:1], v38 offset1:231
	v_lshrrev_b32_e32 v22, 16, v3
	v_fma_f16 v13, v18, v6, v13
	v_mul_f16_sdwa v6, v18, v6 dst_sel:DWORD dst_unused:UNUSED_PAD src0_sel:WORD_1 src1_sel:DWORD
	v_fma_f16 v6, v18, v14, -v6
	v_mul_f16_sdwa v14, v16, v22 dst_sel:DWORD dst_unused:UNUSED_PAD src0_sel:WORD_1 src1_sel:DWORD
	v_lshrrev_b32_e32 v23, 16, v5
	v_fma_f16 v14, v16, v3, v14
	v_mul_f16_sdwa v3, v16, v3 dst_sel:DWORD dst_unused:UNUSED_PAD src0_sel:WORD_1 src1_sel:DWORD
	v_fma_f16 v3, v16, v22, -v3
	v_mul_f16_sdwa v16, v17, v23 dst_sel:DWORD dst_unused:UNUSED_PAD src0_sel:WORD_1 src1_sel:DWORD
	v_lshrrev_b32_e32 v24, 16, v7
	v_fma_f16 v16, v17, v5, v16
	v_mul_f16_sdwa v5, v17, v5 dst_sel:DWORD dst_unused:UNUSED_PAD src0_sel:WORD_1 src1_sel:DWORD
	s_waitcnt lgkmcnt(0)
	v_lshrrev_b32_e32 v11, 16, v0
	v_fma_f16 v5, v17, v23, -v5
	v_mul_f16_sdwa v17, v18, v24 dst_sel:DWORD dst_unused:UNUSED_PAD src0_sel:WORD_1 src1_sel:DWORD
	v_fma_f16 v17, v18, v7, v17
	v_mul_f16_sdwa v7, v18, v7 dst_sel:DWORD dst_unused:UNUSED_PAD src0_sel:WORD_1 src1_sel:DWORD
	v_sub_f16_e32 v12, v0, v12
	v_sub_f16_e32 v4, v11, v4
	;; [unrolled: 1-line block ×4, first 2 shown]
	v_lshrrev_b32_e32 v15, 16, v1
	v_fma_f16 v7, v18, v24, -v7
	v_fma_f16 v0, v0, 2.0, -v12
	v_fma_f16 v11, v11, 2.0, -v4
	;; [unrolled: 1-line block ×4, first 2 shown]
	v_sub_f16_e32 v18, v0, v18
	v_sub_f16_e32 v2, v11, v2
	v_add_f16_e32 v6, v12, v6
	v_sub_f16_e32 v13, v4, v13
	v_sub_f16_e32 v16, v1, v16
	;; [unrolled: 1-line block ×5, first 2 shown]
	v_fma_f16 v0, v0, 2.0, -v18
	v_fma_f16 v11, v11, 2.0, -v2
	;; [unrolled: 1-line block ×8, first 2 shown]
	v_sub_f16_e32 v14, v1, v14
	v_sub_f16_e32 v3, v15, v3
	v_add_f16_e32 v7, v16, v7
	v_sub_f16_e32 v17, v5, v17
	v_pack_b32_f16 v0, v0, v11
	v_pack_b32_f16 v4, v12, v4
	v_fma_f16 v1, v1, 2.0, -v14
	v_fma_f16 v15, v15, 2.0, -v3
	;; [unrolled: 1-line block ×4, first 2 shown]
	s_barrier
	ds_write2_b32 v38, v0, v4 offset1:231
	v_pack_b32_f16 v0, v18, v2
	v_pack_b32_f16 v2, v6, v13
	ds_write2_b32 v8, v0, v2 offset0:14 offset1:245
	v_pack_b32_f16 v0, v1, v15
	v_pack_b32_f16 v1, v16, v5
	ds_write2_b32 v9, v0, v1 offset0:12 offset1:243
	;; [unrolled: 3-line block ×3, first 2 shown]
	s_waitcnt lgkmcnt(0)
	s_barrier
	ds_read2_b32 v[0:1], v38 offset1:231
	ds_read2_b32 v[2:3], v9 offset0:12 offset1:243
	ds_read2_b32 v[4:5], v8 offset0:14 offset1:245
	;; [unrolled: 1-line block ×3, first 2 shown]
	s_mov_b32 s6, 0x4046ed29
	s_mov_b32 s7, 0x3f41bb4a
	s_waitcnt lgkmcnt(3)
	v_lshrrev_b32_e32 v9, 16, v0
	s_waitcnt lgkmcnt(2)
	v_lshrrev_b32_e32 v10, 16, v2
	v_mul_f16_sdwa v17, v54, v10 dst_sel:DWORD dst_unused:UNUSED_PAD src0_sel:WORD_1 src1_sel:DWORD
	v_lshrrev_b32_e32 v12, 16, v3
	v_fma_f16 v17, v54, v2, v17
	v_mul_f16_sdwa v2, v54, v2 dst_sel:DWORD dst_unused:UNUSED_PAD src0_sel:WORD_1 src1_sel:DWORD
	v_fma_f16 v2, v54, v10, -v2
	v_mul_f16_sdwa v10, v57, v12 dst_sel:DWORD dst_unused:UNUSED_PAD src0_sel:WORD_1 src1_sel:DWORD
	s_waitcnt lgkmcnt(0)
	v_lshrrev_b32_e32 v14, 16, v6
	v_fma_f16 v10, v57, v3, v10
	v_mul_f16_sdwa v3, v57, v3 dst_sel:DWORD dst_unused:UNUSED_PAD src0_sel:WORD_1 src1_sel:DWORD
	v_fma_f16 v3, v57, v12, -v3
	v_mul_f16_sdwa v12, v58, v14 dst_sel:DWORD dst_unused:UNUSED_PAD src0_sel:WORD_1 src1_sel:DWORD
	v_lshrrev_b32_e32 v16, 16, v7
	v_fma_f16 v12, v58, v6, v12
	v_mul_f16_sdwa v6, v58, v6 dst_sel:DWORD dst_unused:UNUSED_PAD src0_sel:WORD_1 src1_sel:DWORD
	v_fma_f16 v6, v58, v14, -v6
	v_mul_f16_sdwa v14, v59, v16 dst_sel:DWORD dst_unused:UNUSED_PAD src0_sel:WORD_1 src1_sel:DWORD
	v_lshrrev_b32_e32 v11, 16, v1
	v_fma_f16 v14, v59, v7, v14
	v_mul_f16_sdwa v7, v59, v7 dst_sel:DWORD dst_unused:UNUSED_PAD src0_sel:WORD_1 src1_sel:DWORD
	v_fma_f16 v7, v59, v16, -v7
	v_sub_f16_e32 v16, v0, v17
	v_sub_f16_e32 v2, v9, v2
	;; [unrolled: 1-line block ×4, first 2 shown]
	v_lshrrev_b32_e32 v13, 16, v4
	v_lshrrev_b32_e32 v15, 16, v5
	v_fma_f16 v0, v0, 2.0, -v16
	v_fma_f16 v9, v9, 2.0, -v2
	;; [unrolled: 1-line block ×4, first 2 shown]
	v_sub_f16_e32 v12, v4, v12
	v_sub_f16_e32 v6, v13, v6
	;; [unrolled: 1-line block ×4, first 2 shown]
	v_pack_b32_f16 v0, v0, v9
	v_pack_b32_f16 v2, v16, v2
	v_pack_b32_f16 v1, v1, v11
	v_fma_f16 v4, v4, 2.0, -v12
	v_fma_f16 v13, v13, 2.0, -v6
	;; [unrolled: 1-line block ×4, first 2 shown]
	ds_write_b32 v38, v2 offset:3696
	ds_write2_b32 v38, v0, v1 offset1:231
	v_pack_b32_f16 v0, v10, v3
	v_pack_b32_f16 v2, v12, v6
	v_add_u32_e32 v3, 0x1200, v38
	v_pack_b32_f16 v1, v4, v13
	ds_write2_b32 v3, v0, v2 offset0:3 offset1:234
	v_pack_b32_f16 v0, v5, v15
	ds_write2_b32 v8, v1, v0 offset0:14 offset1:245
	v_pack_b32_f16 v0, v14, v7
	ds_write_b32 v38, v0 offset:6468
	s_waitcnt lgkmcnt(0)
	s_barrier
	ds_read2_b32 v[0:1], v38 offset1:231
	v_mad_u64_u32 v[3:4], s[2:3], s10, v21, 0
	s_movk_i32 s14, 0x1ff
	s_movk_i32 s15, 0xffe
	s_waitcnt lgkmcnt(0)
	v_lshrrev_b32_e32 v9, 16, v0
	v_mul_f16_sdwa v2, v45, v9 dst_sel:DWORD dst_unused:UNUSED_PAD src0_sel:WORD_1 src1_sel:DWORD
	v_fma_f16 v2, v45, v0, v2
	v_cvt_f32_f16_e32 v2, v2
	v_mul_f16_sdwa v0, v45, v0 dst_sel:DWORD dst_unused:UNUSED_PAD src0_sel:WORD_1 src1_sel:DWORD
	v_fma_f16 v0, v45, v9, -v0
	v_cvt_f32_f16_e32 v0, v0
	v_cvt_f64_f32_e32 v[5:6], v2
	v_mov_b32_e32 v2, v4
	v_mad_u64_u32 v[7:8], s[2:3], s11, v21, v[2:3]
	v_mul_f64 v[5:6], v[5:6], s[6:7]
	s_movk_i32 s16, 0x40f
	v_mov_b32_e32 v4, v7
	s_mov_b32 s17, 0x8000
	v_lshlrev_b64 v[3:4], 2, v[3:4]
	s_movk_i32 s18, 0x1000
	v_and_or_b32 v2, v6, s14, v5
	v_cmp_ne_u32_e32 vcc, 0, v2
	v_cndmask_b32_e64 v2, 0, 1, vcc
	v_lshrrev_b32_e32 v5, 8, v6
	v_bfe_u32 v7, v6, 20, 11
	v_and_or_b32 v5, v5, s15, v2
	v_sub_u32_e32 v8, 0x3f1, v7
	v_or_b32_e32 v2, 0x1000, v5
	v_med3_i32 v8, v8, 0, 13
	v_lshrrev_b32_e32 v10, v8, v2
	v_lshlrev_b32_e32 v8, v8, v10
	v_cmp_ne_u32_e32 vcc, v8, v2
	v_cndmask_b32_e64 v2, 0, 1, vcc
	v_or_b32_e32 v2, v10, v2
	v_add_u32_e32 v10, 0xfffffc10, v7
	v_lshl_or_b32 v7, v10, 12, v5
	v_cmp_gt_i32_e32 vcc, 1, v10
	v_cndmask_b32_e32 v2, v7, v2, vcc
	v_and_b32_e32 v7, 7, v2
	v_cmp_lt_i32_e32 vcc, 5, v7
	v_cmp_eq_u32_e64 s[2:3], 3, v7
	v_cvt_f64_f32_e32 v[7:8], v0
	v_lshrrev_b32_e32 v2, 2, v2
	s_or_b64 vcc, s[2:3], vcc
	v_addc_co_u32_e32 v9, vcc, 0, v2, vcc
	v_mul_f64 v[7:8], v[7:8], s[6:7]
	v_mov_b32_e32 v2, 0x7c00
	v_cmp_gt_i32_e32 vcc, 31, v10
	v_cndmask_b32_e32 v0, v2, v9, vcc
	v_cmp_ne_u32_e32 vcc, 0, v5
	v_cndmask_b32_e64 v5, 0, 1, vcc
	v_lshl_or_b32 v5, v5, 9, v2
	v_cmp_eq_u32_e32 vcc, s16, v10
	v_cndmask_b32_e32 v0, v0, v5, vcc
	v_lshrrev_b32_e32 v5, 16, v6
	v_and_or_b32 v11, v5, s17, v0
	v_and_or_b32 v0, v8, s14, v7
	v_cmp_ne_u32_e32 vcc, 0, v0
	v_cndmask_b32_e64 v0, 0, 1, vcc
	v_lshrrev_b32_e32 v5, 8, v8
	v_bfe_u32 v6, v8, 20, 11
	v_and_or_b32 v0, v5, s15, v0
	v_sub_u32_e32 v7, 0x3f1, v6
	v_or_b32_e32 v5, 0x1000, v0
	v_med3_i32 v7, v7, 0, 13
	v_lshrrev_b32_e32 v9, v7, v5
	v_lshlrev_b32_e32 v7, v7, v9
	v_cmp_ne_u32_e32 vcc, v7, v5
	v_cndmask_b32_e64 v5, 0, 1, vcc
	v_add_u32_e32 v6, 0xfffffc10, v6
	v_or_b32_e32 v5, v9, v5
	v_lshl_or_b32 v7, v6, 12, v0
	v_cmp_gt_i32_e32 vcc, 1, v6
	v_cndmask_b32_e32 v5, v7, v5, vcc
	v_and_b32_e32 v7, 7, v5
	v_cmp_lt_i32_e32 vcc, 5, v7
	v_cmp_eq_u32_e64 s[2:3], 3, v7
	v_lshrrev_b32_e32 v5, 2, v5
	s_or_b64 vcc, s[2:3], vcc
	v_addc_co_u32_e32 v5, vcc, 0, v5, vcc
	v_cmp_gt_i32_e32 vcc, 31, v6
	v_cndmask_b32_e32 v5, v2, v5, vcc
	v_cmp_ne_u32_e32 vcc, 0, v0
	v_cndmask_b32_e64 v0, 0, 1, vcc
	v_lshl_or_b32 v0, v0, 9, v2
	v_cmp_eq_u32_e32 vcc, s16, v6
	v_cndmask_b32_e32 v12, v5, v0, vcc
	v_add_u32_e32 v0, 0x980, v38
	v_mad_u64_u32 v[5:6], s[2:3], s8, v43, 0
	ds_read2_b32 v[9:10], v0 offset0:8 offset1:239
	v_lshrrev_b32_e32 v8, 16, v8
	v_mov_b32_e32 v0, v6
	v_mad_u64_u32 v[6:7], s[2:3], s9, v43, v[0:1]
	s_waitcnt lgkmcnt(0)
	v_lshrrev_b32_e32 v0, 16, v9
	v_mul_f16_sdwa v7, v44, v0 dst_sel:DWORD dst_unused:UNUSED_PAD src0_sel:WORD_1 src1_sel:DWORD
	v_fma_f16 v7, v44, v9, v7
	v_cvt_f32_f16_e32 v7, v7
	v_and_or_b32 v12, v8, s17, v12
	v_and_b32_e32 v11, 0xffff, v11
	v_lshl_or_b32 v11, v12, 16, v11
	v_cvt_f64_f32_e32 v[7:8], v7
	v_mov_b32_e32 v12, s13
	v_add_co_u32_e32 v13, vcc, s12, v3
	v_mul_f64 v[7:8], v[7:8], s[6:7]
	v_addc_co_u32_e32 v12, vcc, v12, v4, vcc
	v_lshlrev_b64 v[3:4], 2, v[5:6]
	v_mul_f16_sdwa v9, v44, v9 dst_sel:DWORD dst_unused:UNUSED_PAD src0_sel:WORD_1 src1_sel:DWORD
	v_add_co_u32_e32 v3, vcc, v13, v3
	v_addc_co_u32_e32 v4, vcc, v12, v4, vcc
	v_and_or_b32 v5, v8, s14, v7
	v_cmp_ne_u32_e32 vcc, 0, v5
	v_cndmask_b32_e64 v5, 0, 1, vcc
	v_lshrrev_b32_e32 v6, 8, v8
	v_and_or_b32 v7, v6, s15, v5
	v_bfe_u32 v6, v8, 20, 11
	global_store_dword v[3:4], v11, off
	v_sub_u32_e32 v11, 0x3f1, v6
	v_or_b32_e32 v5, 0x1000, v7
	v_med3_i32 v11, v11, 0, 13
	v_lshrrev_b32_e32 v12, v11, v5
	v_lshlrev_b32_e32 v11, v11, v12
	v_cmp_ne_u32_e32 vcc, v11, v5
	v_fma_f16 v0, v44, v0, -v9
	v_cndmask_b32_e64 v5, 0, 1, vcc
	v_add_u32_e32 v11, 0xfffffc10, v6
	v_cvt_f32_f16_e32 v0, v0
	v_or_b32_e32 v5, v12, v5
	v_lshl_or_b32 v6, v11, 12, v7
	v_cmp_gt_i32_e32 vcc, 1, v11
	v_cndmask_b32_e32 v5, v6, v5, vcc
	v_and_b32_e32 v6, 7, v5
	v_cmp_lt_i32_e32 vcc, 5, v6
	v_cmp_eq_u32_e64 s[2:3], 3, v6
	v_lshrrev_b32_e32 v9, 2, v5
	v_cvt_f64_f32_e32 v[5:6], v0
	s_or_b64 vcc, s[2:3], vcc
	v_addc_co_u32_e32 v0, vcc, 0, v9, vcc
	v_mul_f64 v[5:6], v[5:6], s[6:7]
	v_cmp_gt_i32_e32 vcc, 31, v11
	v_cndmask_b32_e32 v0, v2, v0, vcc
	v_cmp_ne_u32_e32 vcc, 0, v7
	v_cndmask_b32_e64 v7, 0, 1, vcc
	v_lshl_or_b32 v7, v7, 9, v2
	v_cmp_eq_u32_e32 vcc, s16, v11
	v_cndmask_b32_e32 v0, v0, v7, vcc
	v_and_or_b32 v5, v6, s14, v5
	v_lshrrev_b32_e32 v7, 16, v8
	v_cmp_ne_u32_e32 vcc, 0, v5
	v_and_or_b32 v0, v7, s17, v0
	v_cndmask_b32_e64 v5, 0, 1, vcc
	v_lshrrev_b32_e32 v7, 8, v6
	v_bfe_u32 v8, v6, 20, 11
	v_and_or_b32 v5, v7, s15, v5
	v_sub_u32_e32 v9, 0x3f1, v8
	v_or_b32_e32 v7, 0x1000, v5
	v_med3_i32 v9, v9, 0, 13
	v_lshrrev_b32_e32 v11, v9, v7
	v_lshlrev_b32_e32 v9, v9, v11
	v_cmp_ne_u32_e32 vcc, v9, v7
	v_cndmask_b32_e64 v7, 0, 1, vcc
	v_add_u32_e32 v9, 0xfffffc10, v8
	v_or_b32_e32 v7, v11, v7
	v_lshl_or_b32 v8, v9, 12, v5
	v_cmp_gt_i32_e32 vcc, 1, v9
	v_cndmask_b32_e32 v7, v8, v7, vcc
	v_and_b32_e32 v8, 7, v7
	v_cmp_lt_i32_e32 vcc, 5, v8
	v_cmp_eq_u32_e64 s[2:3], 3, v8
	v_lshrrev_b32_e32 v7, 2, v7
	s_or_b64 vcc, s[2:3], vcc
	v_addc_co_u32_e32 v7, vcc, 0, v7, vcc
	v_cmp_gt_i32_e32 vcc, 31, v9
	v_cndmask_b32_e32 v11, v2, v7, vcc
	v_add_u32_e32 v7, 0x1300, v38
	ds_read2_b32 v[7:8], v7 offset0:16 offset1:247
	v_cmp_ne_u32_e32 vcc, 0, v5
	v_cndmask_b32_e64 v5, 0, 1, vcc
	v_lshl_or_b32 v5, v5, 9, v2
	v_cmp_eq_u32_e32 vcc, s16, v9
	v_cndmask_b32_e32 v5, v11, v5, vcc
	v_lshrrev_b32_e32 v6, 16, v6
	s_waitcnt lgkmcnt(0)
	v_lshrrev_b32_e32 v11, 16, v7
	v_and_or_b32 v9, v6, s17, v5
	v_mul_f16_sdwa v5, v42, v11 dst_sel:DWORD dst_unused:UNUSED_PAD src0_sel:WORD_1 src1_sel:DWORD
	v_fma_f16 v5, v42, v7, v5
	v_cvt_f32_f16_e32 v5, v5
	s_mul_i32 s2, s9, 0x268
	s_mul_hi_u32 s3, s8, 0x268
	s_add_i32 s3, s3, s2
	v_cvt_f64_f32_e32 v[5:6], v5
	s_mul_i32 s2, s8, 0x268
	v_and_b32_e32 v0, 0xffff, v0
	s_lshl_b64 s[10:11], s[2:3], 2
	v_mul_f64 v[5:6], v[5:6], s[6:7]
	v_lshl_or_b32 v0, v9, 16, v0
	v_mov_b32_e32 v9, s11
	v_add_co_u32_e32 v3, vcc, s10, v3
	v_addc_co_u32_e32 v4, vcc, v4, v9, vcc
	global_store_dword v[3:4], v0, off
	v_and_or_b32 v0, v6, s14, v5
	v_cmp_ne_u32_e32 vcc, 0, v0
	v_cndmask_b32_e64 v0, 0, 1, vcc
	v_lshrrev_b32_e32 v5, 8, v6
	v_bfe_u32 v12, v6, 20, 11
	v_and_or_b32 v0, v5, s15, v0
	v_sub_u32_e32 v13, 0x3f1, v12
	v_or_b32_e32 v5, 0x1000, v0
	v_med3_i32 v13, v13, 0, 13
	v_lshrrev_b32_e32 v14, v13, v5
	v_lshlrev_b32_e32 v13, v13, v14
	v_mul_f16_sdwa v7, v42, v7 dst_sel:DWORD dst_unused:UNUSED_PAD src0_sel:WORD_1 src1_sel:DWORD
	v_cmp_ne_u32_e32 vcc, v13, v5
	v_fma_f16 v7, v42, v11, -v7
	v_cndmask_b32_e64 v5, 0, 1, vcc
	v_add_u32_e32 v13, 0xfffffc10, v12
	v_cvt_f32_f16_e32 v7, v7
	v_or_b32_e32 v5, v14, v5
	v_lshl_or_b32 v12, v13, 12, v0
	v_cmp_gt_i32_e32 vcc, 1, v13
	v_cndmask_b32_e32 v5, v12, v5, vcc
	v_and_b32_e32 v12, 7, v5
	v_cmp_lt_i32_e32 vcc, 5, v12
	v_cmp_eq_u32_e64 s[2:3], 3, v12
	v_cvt_f64_f32_e32 v[11:12], v7
	v_lshrrev_b32_e32 v5, 2, v5
	s_or_b64 vcc, s[2:3], vcc
	v_addc_co_u32_e32 v5, vcc, 0, v5, vcc
	v_mul_f64 v[11:12], v[11:12], s[6:7]
	v_cmp_gt_i32_e32 vcc, 31, v13
	v_cndmask_b32_e32 v5, v2, v5, vcc
	v_cmp_ne_u32_e32 vcc, 0, v0
	v_cndmask_b32_e64 v0, 0, 1, vcc
	v_lshl_or_b32 v0, v0, 9, v2
	v_cmp_eq_u32_e32 vcc, s16, v13
	v_cndmask_b32_e32 v0, v5, v0, vcc
	v_lshrrev_b32_e32 v5, 16, v6
	v_and_or_b32 v0, v5, s17, v0
	v_and_or_b32 v5, v12, s14, v11
	v_cmp_ne_u32_e32 vcc, 0, v5
	v_cndmask_b32_e64 v5, 0, 1, vcc
	v_lshrrev_b32_e32 v6, 8, v12
	v_bfe_u32 v7, v12, 20, 11
	v_and_or_b32 v5, v6, s15, v5
	v_sub_u32_e32 v11, 0x3f1, v7
	v_or_b32_e32 v6, 0x1000, v5
	v_med3_i32 v11, v11, 0, 13
	v_lshrrev_b32_e32 v13, v11, v6
	v_lshlrev_b32_e32 v11, v11, v13
	v_cmp_ne_u32_e32 vcc, v11, v6
	v_cndmask_b32_e64 v6, 0, 1, vcc
	v_add_u32_e32 v7, 0xfffffc10, v7
	v_or_b32_e32 v6, v13, v6
	v_lshl_or_b32 v11, v7, 12, v5
	v_cmp_gt_i32_e32 vcc, 1, v7
	v_cndmask_b32_e32 v6, v11, v6, vcc
	v_and_b32_e32 v11, 7, v6
	v_cmp_lt_i32_e32 vcc, 5, v11
	v_cmp_eq_u32_e64 s[2:3], 3, v11
	v_lshrrev_b32_e32 v6, 2, v6
	s_or_b64 vcc, s[2:3], vcc
	v_addc_co_u32_e32 v6, vcc, 0, v6, vcc
	v_cmp_gt_i32_e32 vcc, 31, v7
	v_lshrrev_b32_e32 v13, 16, v1
	v_cndmask_b32_e32 v11, v2, v6, vcc
	v_mul_f16_sdwa v6, v41, v13 dst_sel:DWORD dst_unused:UNUSED_PAD src0_sel:WORD_1 src1_sel:DWORD
	v_fma_f16 v6, v41, v1, v6
	v_cvt_f32_f16_e32 v6, v6
	v_cmp_ne_u32_e32 vcc, 0, v5
	v_cndmask_b32_e64 v5, 0, 1, vcc
	v_lshl_or_b32 v14, v5, 9, v2
	v_cvt_f64_f32_e32 v[5:6], v6
	v_cmp_eq_u32_e32 vcc, s16, v7
	v_cndmask_b32_e32 v7, v11, v14, vcc
	v_lshrrev_b32_e32 v11, 16, v12
	v_mul_f64 v[5:6], v[5:6], s[6:7]
	v_and_or_b32 v7, v11, s17, v7
	v_and_b32_e32 v0, 0xffff, v0
	v_add_co_u32_e32 v3, vcc, s10, v3
	v_lshl_or_b32 v0, v7, 16, v0
	v_addc_co_u32_e32 v4, vcc, v4, v9, vcc
	global_store_dword v[3:4], v0, off
	v_and_or_b32 v0, v6, s14, v5
	v_cmp_ne_u32_e32 vcc, 0, v0
	v_cndmask_b32_e64 v0, 0, 1, vcc
	v_lshrrev_b32_e32 v5, 8, v6
	v_bfe_u32 v7, v6, 20, 11
	v_and_or_b32 v5, v5, s15, v0
	v_sub_u32_e32 v11, 0x3f1, v7
	v_or_b32_e32 v0, 0x1000, v5
	v_med3_i32 v11, v11, 0, 13
	v_lshrrev_b32_e32 v12, v11, v0
	v_lshlrev_b32_e32 v11, v11, v12
	v_mul_f16_sdwa v1, v41, v1 dst_sel:DWORD dst_unused:UNUSED_PAD src0_sel:WORD_1 src1_sel:DWORD
	v_cmp_ne_u32_e32 vcc, v11, v0
	v_fma_f16 v1, v41, v13, -v1
	v_cndmask_b32_e64 v0, 0, 1, vcc
	v_add_u32_e32 v7, 0xfffffc10, v7
	v_cvt_f32_f16_e32 v1, v1
	v_or_b32_e32 v0, v12, v0
	v_lshl_or_b32 v11, v7, 12, v5
	v_cmp_gt_i32_e32 vcc, 1, v7
	v_cndmask_b32_e32 v0, v11, v0, vcc
	v_and_b32_e32 v11, 7, v0
	v_cmp_lt_i32_e32 vcc, 5, v11
	v_cmp_eq_u32_e64 s[2:3], 3, v11
	v_lshrrev_b32_e32 v11, 2, v0
	v_cvt_f64_f32_e32 v[0:1], v1
	s_or_b64 vcc, s[2:3], vcc
	v_addc_co_u32_e32 v11, vcc, 0, v11, vcc
	v_mul_f64 v[0:1], v[0:1], s[6:7]
	v_cmp_gt_i32_e32 vcc, 31, v7
	v_cndmask_b32_e32 v11, v2, v11, vcc
	v_cmp_ne_u32_e32 vcc, 0, v5
	v_cndmask_b32_e64 v5, 0, 1, vcc
	v_lshl_or_b32 v5, v5, 9, v2
	v_cmp_eq_u32_e32 vcc, s16, v7
	v_cndmask_b32_e32 v5, v11, v5, vcc
	v_and_or_b32 v0, v1, s14, v0
	v_lshrrev_b32_e32 v6, 16, v6
	v_cmp_ne_u32_e32 vcc, 0, v0
	v_and_or_b32 v5, v6, s17, v5
	v_cndmask_b32_e64 v0, 0, 1, vcc
	v_lshrrev_b32_e32 v6, 8, v1
	v_bfe_u32 v7, v1, 20, 11
	v_and_or_b32 v0, v6, s15, v0
	v_sub_u32_e32 v11, 0x3f1, v7
	v_or_b32_e32 v6, 0x1000, v0
	v_med3_i32 v11, v11, 0, 13
	v_lshrrev_b32_e32 v12, v11, v6
	v_lshlrev_b32_e32 v11, v11, v12
	v_cmp_ne_u32_e32 vcc, v11, v6
	v_cndmask_b32_e64 v6, 0, 1, vcc
	v_add_u32_e32 v7, 0xfffffc10, v7
	v_or_b32_e32 v6, v12, v6
	v_lshl_or_b32 v11, v7, 12, v0
	v_cmp_gt_i32_e32 vcc, 1, v7
	v_cndmask_b32_e32 v6, v11, v6, vcc
	v_and_b32_e32 v11, 7, v6
	v_cmp_lt_i32_e32 vcc, 5, v11
	v_cmp_eq_u32_e64 s[2:3], 3, v11
	v_lshrrev_b32_e32 v6, 2, v6
	s_or_b64 vcc, s[2:3], vcc
	v_addc_co_u32_e32 v6, vcc, 0, v6, vcc
	v_cmp_gt_i32_e32 vcc, 31, v7
	v_cndmask_b32_e32 v6, v2, v6, vcc
	v_cmp_ne_u32_e32 vcc, 0, v0
	v_cndmask_b32_e64 v0, 0, 1, vcc
	v_lshl_or_b32 v0, v0, 9, v2
	v_cmp_eq_u32_e32 vcc, s16, v7
	v_cndmask_b32_e32 v0, v6, v0, vcc
	v_lshrrev_b32_e32 v1, 16, v1
	v_lshrrev_b32_e32 v7, 16, v10
	v_and_or_b32 v6, v1, s17, v0
	v_mul_f16_sdwa v0, v40, v7 dst_sel:DWORD dst_unused:UNUSED_PAD src0_sel:WORD_1 src1_sel:DWORD
	v_fma_f16 v0, v40, v10, v0
	v_cvt_f32_f16_e32 v0, v0
	s_mul_hi_u32 s3, s8, 0xfffffc17
	s_mul_i32 s2, s9, 0xfffffc17
	s_sub_i32 s3, s3, s8
	v_cvt_f64_f32_e32 v[0:1], v0
	s_add_i32 s3, s3, s2
	s_mul_i32 s2, s8, 0xfffffc17
	v_and_b32_e32 v5, 0xffff, v5
	v_mul_f64 v[0:1], v[0:1], s[6:7]
	s_lshl_b64 s[4:5], s[2:3], 2
	v_lshl_or_b32 v5, v6, 16, v5
	v_mov_b32_e32 v6, s5
	v_add_co_u32_e32 v3, vcc, s4, v3
	v_addc_co_u32_e32 v4, vcc, v4, v6, vcc
	v_and_or_b32 v0, v1, s14, v0
	v_cmp_ne_u32_e32 vcc, 0, v0
	global_store_dword v[3:4], v5, off
	v_cndmask_b32_e64 v0, 0, 1, vcc
	v_lshrrev_b32_e32 v5, 8, v1
	v_bfe_u32 v6, v1, 20, 11
	v_and_or_b32 v0, v5, s15, v0
	v_sub_u32_e32 v11, 0x3f1, v6
	v_or_b32_e32 v5, 0x1000, v0
	v_med3_i32 v11, v11, 0, 13
	v_lshrrev_b32_e32 v12, v11, v5
	v_lshlrev_b32_e32 v11, v11, v12
	v_mul_f16_sdwa v10, v40, v10 dst_sel:DWORD dst_unused:UNUSED_PAD src0_sel:WORD_1 src1_sel:DWORD
	v_cmp_ne_u32_e32 vcc, v11, v5
	v_fma_f16 v7, v40, v7, -v10
	v_cndmask_b32_e64 v5, 0, 1, vcc
	v_add_u32_e32 v11, 0xfffffc10, v6
	v_cvt_f32_f16_e32 v7, v7
	v_or_b32_e32 v5, v12, v5
	v_lshl_or_b32 v6, v11, 12, v0
	v_cmp_gt_i32_e32 vcc, 1, v11
	v_cndmask_b32_e32 v5, v6, v5, vcc
	v_and_b32_e32 v6, 7, v5
	v_cmp_lt_i32_e32 vcc, 5, v6
	v_cmp_eq_u32_e64 s[2:3], 3, v6
	v_lshrrev_b32_e32 v10, 2, v5
	v_cvt_f64_f32_e32 v[5:6], v7
	s_or_b64 vcc, s[2:3], vcc
	v_addc_co_u32_e32 v7, vcc, 0, v10, vcc
	v_mul_f64 v[5:6], v[5:6], s[6:7]
	v_cmp_gt_i32_e32 vcc, 31, v11
	v_cndmask_b32_e32 v7, v2, v7, vcc
	v_cmp_ne_u32_e32 vcc, 0, v0
	v_cndmask_b32_e64 v0, 0, 1, vcc
	v_lshl_or_b32 v0, v0, 9, v2
	v_cmp_eq_u32_e32 vcc, s16, v11
	v_cndmask_b32_e32 v0, v7, v0, vcc
	v_lshrrev_b32_e32 v1, 16, v1
	v_and_or_b32 v7, v1, s17, v0
	v_and_or_b32 v0, v6, s14, v5
	v_cmp_ne_u32_e32 vcc, 0, v0
	v_cndmask_b32_e64 v0, 0, 1, vcc
	v_lshrrev_b32_e32 v1, 8, v6
	v_bfe_u32 v5, v6, 20, 11
	v_and_or_b32 v0, v1, s15, v0
	v_sub_u32_e32 v10, 0x3f1, v5
	v_or_b32_e32 v1, 0x1000, v0
	v_med3_i32 v10, v10, 0, 13
	v_lshrrev_b32_e32 v11, v10, v1
	v_lshlrev_b32_e32 v10, v10, v11
	v_cmp_ne_u32_e32 vcc, v10, v1
	v_cndmask_b32_e64 v1, 0, 1, vcc
	v_add_u32_e32 v5, 0xfffffc10, v5
	v_or_b32_e32 v1, v11, v1
	v_lshl_or_b32 v10, v5, 12, v0
	v_cmp_gt_i32_e32 vcc, 1, v5
	v_cndmask_b32_e32 v1, v10, v1, vcc
	v_and_b32_e32 v10, 7, v1
	v_cmp_lt_i32_e32 vcc, 5, v10
	v_cmp_eq_u32_e64 s[2:3], 3, v10
	v_lshrrev_b32_e32 v1, 2, v1
	s_or_b64 vcc, s[2:3], vcc
	v_addc_co_u32_e32 v1, vcc, 0, v1, vcc
	v_cmp_gt_i32_e32 vcc, 31, v5
	v_lshrrev_b32_e32 v11, 16, v8
	v_cndmask_b32_e32 v10, v2, v1, vcc
	v_mul_f16_sdwa v1, v39, v11 dst_sel:DWORD dst_unused:UNUSED_PAD src0_sel:WORD_1 src1_sel:DWORD
	v_fma_f16 v1, v39, v8, v1
	v_cvt_f32_f16_e32 v1, v1
	v_cmp_ne_u32_e32 vcc, 0, v0
	v_cndmask_b32_e64 v0, 0, 1, vcc
	v_lshl_or_b32 v12, v0, 9, v2
	v_cvt_f64_f32_e32 v[0:1], v1
	v_cmp_eq_u32_e32 vcc, s16, v5
	v_cndmask_b32_e32 v5, v10, v12, vcc
	v_lshrrev_b32_e32 v6, 16, v6
	v_mul_f64 v[0:1], v[0:1], s[6:7]
	v_add_co_u32_e32 v3, vcc, s10, v3
	v_and_or_b32 v5, v6, s17, v5
	v_and_b32_e32 v6, 0xffff, v7
	v_addc_co_u32_e32 v4, vcc, v4, v9, vcc
	v_lshl_or_b32 v5, v5, 16, v6
	v_and_or_b32 v0, v1, s14, v0
	v_cmp_ne_u32_e32 vcc, 0, v0
	global_store_dword v[3:4], v5, off
	v_cndmask_b32_e64 v0, 0, 1, vcc
	v_lshrrev_b32_e32 v5, 8, v1
	v_bfe_u32 v6, v1, 20, 11
	v_and_or_b32 v0, v5, s15, v0
	v_sub_u32_e32 v7, 0x3f1, v6
	v_or_b32_e32 v5, 0x1000, v0
	v_med3_i32 v7, v7, 0, 13
	v_lshrrev_b32_e32 v10, v7, v5
	v_lshlrev_b32_e32 v7, v7, v10
	v_mul_f16_sdwa v8, v39, v8 dst_sel:DWORD dst_unused:UNUSED_PAD src0_sel:WORD_1 src1_sel:DWORD
	v_cmp_ne_u32_e32 vcc, v7, v5
	v_fma_f16 v8, v39, v11, -v8
	v_cndmask_b32_e64 v5, 0, 1, vcc
	v_add_u32_e32 v7, 0xfffffc10, v6
	v_cvt_f32_f16_e32 v8, v8
	v_or_b32_e32 v5, v10, v5
	v_lshl_or_b32 v6, v7, 12, v0
	v_cmp_gt_i32_e32 vcc, 1, v7
	v_cndmask_b32_e32 v5, v6, v5, vcc
	v_and_b32_e32 v6, 7, v5
	v_cmp_lt_i32_e32 vcc, 5, v6
	v_cmp_eq_u32_e64 s[2:3], 3, v6
	v_lshrrev_b32_e32 v10, 2, v5
	v_cvt_f64_f32_e32 v[5:6], v8
	s_or_b64 vcc, s[2:3], vcc
	v_addc_co_u32_e32 v8, vcc, 0, v10, vcc
	v_mul_f64 v[5:6], v[5:6], s[6:7]
	v_cmp_gt_i32_e32 vcc, 31, v7
	v_cndmask_b32_e32 v8, v2, v8, vcc
	v_cmp_ne_u32_e32 vcc, 0, v0
	v_cndmask_b32_e64 v0, 0, 1, vcc
	v_lshl_or_b32 v0, v0, 9, v2
	v_cmp_eq_u32_e32 vcc, s16, v7
	v_cndmask_b32_e32 v0, v8, v0, vcc
	v_lshrrev_b32_e32 v1, 16, v1
	v_and_or_b32 v0, v1, s17, v0
	v_and_or_b32 v1, v6, s14, v5
	v_cmp_ne_u32_e32 vcc, 0, v1
	v_cndmask_b32_e64 v1, 0, 1, vcc
	v_lshrrev_b32_e32 v5, 8, v6
	v_bfe_u32 v7, v6, 20, 11
	v_and_or_b32 v1, v5, s15, v1
	v_sub_u32_e32 v8, 0x3f1, v7
	v_or_b32_e32 v5, 0x1000, v1
	v_med3_i32 v8, v8, 0, 13
	v_lshrrev_b32_e32 v10, v8, v5
	v_lshlrev_b32_e32 v8, v8, v10
	v_cmp_ne_u32_e32 vcc, v8, v5
	v_cndmask_b32_e64 v5, 0, 1, vcc
	v_add_u32_e32 v7, 0xfffffc10, v7
	v_or_b32_e32 v5, v10, v5
	v_lshl_or_b32 v8, v7, 12, v1
	v_cmp_gt_i32_e32 vcc, 1, v7
	v_cndmask_b32_e32 v5, v8, v5, vcc
	v_and_b32_e32 v8, 7, v5
	v_cmp_lt_i32_e32 vcc, 5, v8
	v_cmp_eq_u32_e64 s[2:3], 3, v8
	v_lshrrev_b32_e32 v5, 2, v5
	s_or_b64 vcc, s[2:3], vcc
	v_addc_co_u32_e32 v5, vcc, 0, v5, vcc
	v_cmp_gt_i32_e32 vcc, 31, v7
	v_cndmask_b32_e32 v5, v2, v5, vcc
	v_cmp_ne_u32_e32 vcc, 0, v1
	v_cndmask_b32_e64 v1, 0, 1, vcc
	v_lshl_or_b32 v1, v1, 9, v2
	v_cmp_eq_u32_e32 vcc, s16, v7
	v_cndmask_b32_e32 v1, v5, v1, vcc
	v_lshrrev_b32_e32 v5, 16, v6
	v_and_or_b32 v1, v5, s17, v1
	v_and_b32_e32 v0, 0xffff, v0
	v_lshl_or_b32 v5, v1, 16, v0
	v_add_co_u32_e32 v0, vcc, s10, v3
	v_addc_co_u32_e32 v1, vcc, v4, v9, vcc
	global_store_dword v[0:1], v5, off
	s_and_b64 exec, exec, s[0:1]
	s_cbranch_execz .LBB0_31
; %bb.30:
	global_load_dword v5, v[19:20], off offset:1848
	v_add_co_u32_e32 v3, vcc, s18, v19
	v_addc_co_u32_e32 v4, vcc, 0, v20, vcc
	global_load_dword v9, v[3:4], off offset:216
	ds_read_b32 v6, v38 offset:1848
	ds_read_b32 v10, v38 offset:4312
	;; [unrolled: 1-line block ×3, first 2 shown]
	global_load_dword v12, v[3:4], off offset:2680
	v_mov_b32_e32 v14, s5
	s_waitcnt lgkmcnt(2)
	v_lshrrev_b32_e32 v3, 16, v6
	s_waitcnt lgkmcnt(1)
	v_lshrrev_b32_e32 v13, 16, v10
	v_add_co_u32_e32 v0, vcc, s4, v0
	v_addc_co_u32_e32 v1, vcc, v1, v14, vcc
	s_waitcnt vmcnt(2)
	v_mul_f16_sdwa v4, v3, v5 dst_sel:DWORD dst_unused:UNUSED_PAD src0_sel:DWORD src1_sel:WORD_1
	v_mul_f16_sdwa v7, v6, v5 dst_sel:DWORD dst_unused:UNUSED_PAD src0_sel:DWORD src1_sel:WORD_1
	v_fma_f16 v4, v6, v5, v4
	v_fma_f16 v3, v5, v3, -v7
	v_cvt_f32_f16_e32 v4, v4
	s_waitcnt vmcnt(1)
	v_mul_f16_sdwa v5, v13, v9 dst_sel:DWORD dst_unused:UNUSED_PAD src0_sel:DWORD src1_sel:WORD_1
	v_cvt_f32_f16_e32 v6, v3
	v_fma_f16 v5, v10, v9, v5
	v_cvt_f32_f16_e32 v7, v5
	v_cvt_f64_f32_e32 v[3:4], v4
	v_cvt_f64_f32_e32 v[5:6], v6
	;; [unrolled: 1-line block ×3, first 2 shown]
	v_mul_f64 v[3:4], v[3:4], s[6:7]
	v_mul_f64 v[5:6], v[5:6], s[6:7]
	;; [unrolled: 1-line block ×3, first 2 shown]
	v_and_or_b32 v3, v4, s14, v3
	v_and_or_b32 v5, v6, s14, v5
	v_cmp_ne_u32_e32 vcc, 0, v3
	v_lshrrev_b32_e32 v14, 8, v4
	v_bfe_u32 v15, v4, 20, 11
	v_bfe_u32 v17, v6, 20, 11
	v_cndmask_b32_e64 v3, 0, 1, vcc
	v_cmp_ne_u32_e32 vcc, 0, v5
	v_and_or_b32 v7, v8, s14, v7
	v_lshrrev_b32_e32 v16, 8, v6
	v_sub_u32_e32 v18, 0x3f1, v15
	v_cndmask_b32_e64 v5, 0, 1, vcc
	v_sub_u32_e32 v19, 0x3f1, v17
	v_and_or_b32 v3, v14, s15, v3
	v_cmp_ne_u32_e32 vcc, 0, v7
	v_lshrrev_b32_e32 v20, 8, v8
	v_bfe_u32 v21, v8, 20, 11
	v_med3_i32 v14, v18, 0, 13
	v_and_or_b32 v5, v16, s15, v5
	v_med3_i32 v16, v19, 0, 13
	v_cndmask_b32_e64 v7, 0, 1, vcc
	v_or_b32_e32 v19, 0x1000, v3
	v_add_u32_e32 v15, 0xfffffc10, v15
	v_sub_u32_e32 v18, 0x3f1, v21
	v_cmp_ne_u32_e32 vcc, 0, v3
	v_or_b32_e32 v23, 0x1000, v5
	v_and_or_b32 v7, v20, s15, v7
	v_lshrrev_b32_e32 v20, v14, v19
	v_add_u32_e32 v17, 0xfffffc10, v17
	v_lshl_or_b32 v22, v15, 12, v3
	v_cndmask_b32_e64 v3, 0, 1, vcc
	v_cmp_ne_u32_e32 vcc, 0, v5
	v_med3_i32 v18, v18, 0, 13
	v_lshrrev_b32_e32 v25, v16, v23
	v_or_b32_e32 v26, 0x1000, v7
	v_lshlrev_b32_e32 v14, v14, v20
	v_lshl_or_b32 v24, v17, 12, v5
	v_cndmask_b32_e64 v5, 0, 1, vcc
	v_lshlrev_b32_e32 v16, v16, v25
	v_lshrrev_b32_e32 v27, v18, v26
	v_cmp_ne_u32_e32 vcc, v14, v19
	v_cndmask_b32_e64 v14, 0, 1, vcc
	v_cmp_ne_u32_e32 vcc, v16, v23
	v_lshlrev_b32_e32 v18, v18, v27
	v_cndmask_b32_e64 v16, 0, 1, vcc
	v_cmp_ne_u32_e32 vcc, v18, v26
	v_or_b32_e32 v14, v20, v14
	v_cndmask_b32_e64 v18, 0, 1, vcc
	v_cmp_gt_i32_e32 vcc, 1, v15
	v_cndmask_b32_e32 v14, v22, v14, vcc
	v_or_b32_e32 v16, v25, v16
	v_cmp_gt_i32_e32 vcc, 1, v17
	v_and_b32_e32 v19, 7, v14
	v_cndmask_b32_e32 v16, v24, v16, vcc
	v_cmp_lt_i32_e32 vcc, 5, v19
	v_cmp_eq_u32_e64 s[0:1], 3, v19
	v_lshrrev_b32_e32 v14, 2, v14
	v_and_b32_e32 v20, 7, v16
	s_or_b64 vcc, s[0:1], vcc
	v_cmp_lt_i32_e64 s[2:3], 5, v20
	v_cmp_eq_u32_e64 s[4:5], 3, v20
	v_addc_co_u32_e32 v14, vcc, 0, v14, vcc
	v_lshrrev_b32_e32 v16, 2, v16
	s_or_b64 vcc, s[4:5], s[2:3]
	v_addc_co_u32_e32 v16, vcc, 0, v16, vcc
	v_cmp_gt_i32_e32 vcc, 31, v15
	v_cndmask_b32_e32 v14, v2, v14, vcc
	v_cmp_gt_i32_e32 vcc, 31, v17
	v_lshl_or_b32 v3, v3, 9, v2
	v_cndmask_b32_e32 v16, v2, v16, vcc
	v_cmp_eq_u32_e32 vcc, s16, v15
	v_lshl_or_b32 v5, v5, 9, v2
	v_cndmask_b32_e32 v3, v14, v3, vcc
	v_cmp_eq_u32_e32 vcc, s16, v17
	v_lshrrev_b32_e32 v4, 16, v4
	v_lshrrev_b32_e32 v6, 16, v6
	v_cndmask_b32_e32 v5, v16, v5, vcc
	v_and_or_b32 v3, v4, s17, v3
	v_and_or_b32 v4, v6, s17, v5
	v_mul_f16_sdwa v6, v10, v9 dst_sel:DWORD dst_unused:UNUSED_PAD src0_sel:DWORD src1_sel:WORD_1
	v_and_b32_e32 v3, 0xffff, v3
	v_fma_f16 v6, v9, v13, -v6
	v_lshl_or_b32 v3, v4, 16, v3
	v_add_u32_e32 v5, 0xfffffc10, v21
	v_cvt_f32_f16_e32 v6, v6
	global_store_dword v[0:1], v3, off
	v_or_b32_e32 v3, v27, v18
	v_lshl_or_b32 v4, v5, 12, v7
	v_cmp_gt_i32_e32 vcc, 1, v5
	v_cndmask_b32_e32 v3, v4, v3, vcc
	v_and_b32_e32 v4, 7, v3
	v_cmp_lt_i32_e32 vcc, 5, v4
	v_cmp_eq_u32_e64 s[0:1], 3, v4
	v_lshrrev_b32_e32 v9, 2, v3
	v_cvt_f64_f32_e32 v[3:4], v6
	s_or_b64 vcc, s[0:1], vcc
	v_addc_co_u32_e32 v6, vcc, 0, v9, vcc
	v_mul_f64 v[3:4], v[3:4], s[6:7]
	v_cmp_gt_i32_e32 vcc, 31, v5
	v_cndmask_b32_e32 v6, v2, v6, vcc
	v_cmp_ne_u32_e32 vcc, 0, v7
	v_cndmask_b32_e64 v7, 0, 1, vcc
	v_lshl_or_b32 v7, v7, 9, v2
	v_cmp_eq_u32_e32 vcc, s16, v5
	v_cndmask_b32_e32 v5, v6, v7, vcc
	v_and_or_b32 v3, v4, s14, v3
	v_lshrrev_b32_e32 v6, 16, v8
	v_cmp_ne_u32_e32 vcc, 0, v3
	v_and_or_b32 v7, v6, s17, v5
	v_cndmask_b32_e64 v3, 0, 1, vcc
	v_lshrrev_b32_e32 v5, 8, v4
	v_bfe_u32 v6, v4, 20, 11
	v_and_or_b32 v3, v5, s15, v3
	v_sub_u32_e32 v8, 0x3f1, v6
	v_or_b32_e32 v5, 0x1000, v3
	v_med3_i32 v8, v8, 0, 13
	v_lshrrev_b32_e32 v9, v8, v5
	v_lshlrev_b32_e32 v8, v8, v9
	v_cmp_ne_u32_e32 vcc, v8, v5
	v_cndmask_b32_e64 v5, 0, 1, vcc
	v_add_u32_e32 v6, 0xfffffc10, v6
	v_or_b32_e32 v5, v9, v5
	v_lshl_or_b32 v8, v6, 12, v3
	v_cmp_gt_i32_e32 vcc, 1, v6
	v_cndmask_b32_e32 v5, v8, v5, vcc
	v_and_b32_e32 v8, 7, v5
	v_cmp_lt_i32_e32 vcc, 5, v8
	v_cmp_eq_u32_e64 s[0:1], 3, v8
	s_waitcnt lgkmcnt(0)
	v_lshrrev_b32_e32 v8, 16, v11
	v_lshrrev_b32_e32 v5, 2, v5
	s_or_b64 vcc, s[0:1], vcc
	s_waitcnt vmcnt(1)
	v_mul_f16_sdwa v9, v8, v12 dst_sel:DWORD dst_unused:UNUSED_PAD src0_sel:DWORD src1_sel:WORD_1
	v_addc_co_u32_e32 v5, vcc, 0, v5, vcc
	v_fma_f16 v9, v11, v12, v9
	v_cmp_gt_i32_e32 vcc, 31, v6
	v_cvt_f32_f16_e32 v9, v9
	v_cndmask_b32_e32 v5, v2, v5, vcc
	v_cmp_ne_u32_e32 vcc, 0, v3
	v_cndmask_b32_e64 v3, 0, 1, vcc
	v_lshl_or_b32 v3, v3, 9, v2
	v_cmp_eq_u32_e32 vcc, s16, v6
	v_cndmask_b32_e32 v3, v5, v3, vcc
	v_cvt_f64_f32_e32 v[5:6], v9
	v_lshrrev_b32_e32 v4, 16, v4
	v_and_or_b32 v9, v4, s17, v3
	v_and_b32_e32 v7, 0xffff, v7
	v_mul_f64 v[3:4], v[5:6], s[6:7]
	v_lshl_or_b32 v5, v9, 16, v7
	v_mov_b32_e32 v7, s11
	v_add_co_u32_e32 v0, vcc, s10, v0
	v_addc_co_u32_e32 v1, vcc, v1, v7, vcc
	global_store_dword v[0:1], v5, off
	v_and_or_b32 v3, v4, s14, v3
	v_cmp_ne_u32_e32 vcc, 0, v3
	v_cndmask_b32_e64 v3, 0, 1, vcc
	v_lshrrev_b32_e32 v5, 8, v4
	v_bfe_u32 v6, v4, 20, 11
	v_and_or_b32 v3, v5, s15, v3
	v_sub_u32_e32 v9, 0x3f1, v6
	v_or_b32_e32 v5, 0x1000, v3
	v_med3_i32 v9, v9, 0, 13
	v_lshrrev_b32_e32 v10, v9, v5
	v_lshlrev_b32_e32 v9, v9, v10
	v_cmp_ne_u32_e32 vcc, v9, v5
	v_cndmask_b32_e64 v5, 0, 1, vcc
	v_or_b32_e32 v5, v10, v5
	v_mul_f16_sdwa v10, v11, v12 dst_sel:DWORD dst_unused:UNUSED_PAD src0_sel:DWORD src1_sel:WORD_1
	v_fma_f16 v8, v12, v8, -v10
	v_add_u32_e32 v9, 0xfffffc10, v6
	v_cvt_f32_f16_e32 v8, v8
	v_lshl_or_b32 v6, v9, 12, v3
	v_cmp_gt_i32_e32 vcc, 1, v9
	v_cndmask_b32_e32 v5, v6, v5, vcc
	v_and_b32_e32 v6, 7, v5
	v_cmp_lt_i32_e32 vcc, 5, v6
	v_cmp_eq_u32_e64 s[0:1], 3, v6
	v_lshrrev_b32_e32 v10, 2, v5
	v_cvt_f64_f32_e32 v[5:6], v8
	s_or_b64 vcc, s[0:1], vcc
	v_addc_co_u32_e32 v8, vcc, 0, v10, vcc
	v_mul_f64 v[5:6], v[5:6], s[6:7]
	v_cmp_gt_i32_e32 vcc, 31, v9
	v_cndmask_b32_e32 v8, v2, v8, vcc
	v_cmp_ne_u32_e32 vcc, 0, v3
	v_cndmask_b32_e64 v3, 0, 1, vcc
	v_lshl_or_b32 v3, v3, 9, v2
	v_cmp_eq_u32_e32 vcc, s16, v9
	v_cndmask_b32_e32 v3, v8, v3, vcc
	v_lshrrev_b32_e32 v4, 16, v4
	v_and_or_b32 v3, v4, s17, v3
	v_and_or_b32 v4, v6, s14, v5
	v_cmp_ne_u32_e32 vcc, 0, v4
	v_cndmask_b32_e64 v4, 0, 1, vcc
	v_lshrrev_b32_e32 v5, 8, v6
	v_bfe_u32 v8, v6, 20, 11
	v_and_or_b32 v4, v5, s15, v4
	v_sub_u32_e32 v9, 0x3f1, v8
	v_or_b32_e32 v5, 0x1000, v4
	v_med3_i32 v9, v9, 0, 13
	v_lshrrev_b32_e32 v10, v9, v5
	v_lshlrev_b32_e32 v9, v9, v10
	v_cmp_ne_u32_e32 vcc, v9, v5
	v_cndmask_b32_e64 v5, 0, 1, vcc
	v_add_u32_e32 v8, 0xfffffc10, v8
	v_or_b32_e32 v5, v10, v5
	v_lshl_or_b32 v9, v8, 12, v4
	v_cmp_gt_i32_e32 vcc, 1, v8
	v_cndmask_b32_e32 v5, v9, v5, vcc
	v_and_b32_e32 v9, 7, v5
	v_cmp_lt_i32_e32 vcc, 5, v9
	v_cmp_eq_u32_e64 s[0:1], 3, v9
	v_lshrrev_b32_e32 v5, 2, v5
	s_or_b64 vcc, s[0:1], vcc
	v_addc_co_u32_e32 v5, vcc, 0, v5, vcc
	v_cmp_gt_i32_e32 vcc, 31, v8
	v_cndmask_b32_e32 v5, v2, v5, vcc
	v_cmp_ne_u32_e32 vcc, 0, v4
	v_cndmask_b32_e64 v4, 0, 1, vcc
	v_lshl_or_b32 v2, v4, 9, v2
	v_cmp_eq_u32_e32 vcc, s16, v8
	v_cndmask_b32_e32 v2, v5, v2, vcc
	v_lshrrev_b32_e32 v4, 16, v6
	v_and_or_b32 v2, v4, s17, v2
	v_and_b32_e32 v3, 0xffff, v3
	v_add_co_u32_e32 v0, vcc, s10, v0
	v_lshl_or_b32 v2, v2, 16, v3
	v_addc_co_u32_e32 v1, vcc, v1, v7, vcc
	global_store_dword v[0:1], v2, off
.LBB0_31:
	s_endpgm
	.section	.rodata,"a",@progbits
	.p2align	6, 0x0
	.amdhsa_kernel bluestein_single_fwd_len1848_dim1_half_op_CI_CI
		.amdhsa_group_segment_fixed_size 7392
		.amdhsa_private_segment_fixed_size 0
		.amdhsa_kernarg_size 104
		.amdhsa_user_sgpr_count 6
		.amdhsa_user_sgpr_private_segment_buffer 1
		.amdhsa_user_sgpr_dispatch_ptr 0
		.amdhsa_user_sgpr_queue_ptr 0
		.amdhsa_user_sgpr_kernarg_segment_ptr 1
		.amdhsa_user_sgpr_dispatch_id 0
		.amdhsa_user_sgpr_flat_scratch_init 0
		.amdhsa_user_sgpr_private_segment_size 0
		.amdhsa_uses_dynamic_stack 0
		.amdhsa_system_sgpr_private_segment_wavefront_offset 0
		.amdhsa_system_sgpr_workgroup_id_x 1
		.amdhsa_system_sgpr_workgroup_id_y 0
		.amdhsa_system_sgpr_workgroup_id_z 0
		.amdhsa_system_sgpr_workgroup_info 0
		.amdhsa_system_vgpr_workitem_id 0
		.amdhsa_next_free_vgpr 172
		.amdhsa_next_free_sgpr 31
		.amdhsa_reserve_vcc 1
		.amdhsa_reserve_flat_scratch 0
		.amdhsa_float_round_mode_32 0
		.amdhsa_float_round_mode_16_64 0
		.amdhsa_float_denorm_mode_32 3
		.amdhsa_float_denorm_mode_16_64 3
		.amdhsa_dx10_clamp 1
		.amdhsa_ieee_mode 1
		.amdhsa_fp16_overflow 0
		.amdhsa_exception_fp_ieee_invalid_op 0
		.amdhsa_exception_fp_denorm_src 0
		.amdhsa_exception_fp_ieee_div_zero 0
		.amdhsa_exception_fp_ieee_overflow 0
		.amdhsa_exception_fp_ieee_underflow 0
		.amdhsa_exception_fp_ieee_inexact 0
		.amdhsa_exception_int_div_zero 0
	.end_amdhsa_kernel
	.text
.Lfunc_end0:
	.size	bluestein_single_fwd_len1848_dim1_half_op_CI_CI, .Lfunc_end0-bluestein_single_fwd_len1848_dim1_half_op_CI_CI
                                        ; -- End function
	.section	.AMDGPU.csdata,"",@progbits
; Kernel info:
; codeLenInByte = 18624
; NumSgprs: 35
; NumVgprs: 172
; ScratchSize: 0
; MemoryBound: 0
; FloatMode: 240
; IeeeMode: 1
; LDSByteSize: 7392 bytes/workgroup (compile time only)
; SGPRBlocks: 4
; VGPRBlocks: 42
; NumSGPRsForWavesPerEU: 35
; NumVGPRsForWavesPerEU: 172
; Occupancy: 1
; WaveLimiterHint : 1
; COMPUTE_PGM_RSRC2:SCRATCH_EN: 0
; COMPUTE_PGM_RSRC2:USER_SGPR: 6
; COMPUTE_PGM_RSRC2:TRAP_HANDLER: 0
; COMPUTE_PGM_RSRC2:TGID_X_EN: 1
; COMPUTE_PGM_RSRC2:TGID_Y_EN: 0
; COMPUTE_PGM_RSRC2:TGID_Z_EN: 0
; COMPUTE_PGM_RSRC2:TIDIG_COMP_CNT: 0
	.type	__hip_cuid_dd809eed9d2bf776,@object ; @__hip_cuid_dd809eed9d2bf776
	.section	.bss,"aw",@nobits
	.globl	__hip_cuid_dd809eed9d2bf776
__hip_cuid_dd809eed9d2bf776:
	.byte	0                               ; 0x0
	.size	__hip_cuid_dd809eed9d2bf776, 1

	.ident	"AMD clang version 19.0.0git (https://github.com/RadeonOpenCompute/llvm-project roc-6.4.0 25133 c7fe45cf4b819c5991fe208aaa96edf142730f1d)"
	.section	".note.GNU-stack","",@progbits
	.addrsig
	.addrsig_sym __hip_cuid_dd809eed9d2bf776
	.amdgpu_metadata
---
amdhsa.kernels:
  - .args:
      - .actual_access:  read_only
        .address_space:  global
        .offset:         0
        .size:           8
        .value_kind:     global_buffer
      - .actual_access:  read_only
        .address_space:  global
        .offset:         8
        .size:           8
        .value_kind:     global_buffer
      - .actual_access:  read_only
        .address_space:  global
        .offset:         16
        .size:           8
        .value_kind:     global_buffer
      - .actual_access:  read_only
        .address_space:  global
        .offset:         24
        .size:           8
        .value_kind:     global_buffer
      - .actual_access:  read_only
        .address_space:  global
        .offset:         32
        .size:           8
        .value_kind:     global_buffer
      - .offset:         40
        .size:           8
        .value_kind:     by_value
      - .address_space:  global
        .offset:         48
        .size:           8
        .value_kind:     global_buffer
      - .address_space:  global
        .offset:         56
        .size:           8
        .value_kind:     global_buffer
      - .address_space:  global
        .offset:         64
        .size:           8
        .value_kind:     global_buffer
      - .address_space:  global
        .offset:         72
        .size:           8
        .value_kind:     global_buffer
      - .offset:         80
        .size:           4
        .value_kind:     by_value
      - .address_space:  global
        .offset:         88
        .size:           8
        .value_kind:     global_buffer
      - .address_space:  global
        .offset:         96
        .size:           8
        .value_kind:     global_buffer
    .group_segment_fixed_size: 7392
    .kernarg_segment_align: 8
    .kernarg_segment_size: 104
    .language:       OpenCL C
    .language_version:
      - 2
      - 0
    .max_flat_workgroup_size: 231
    .name:           bluestein_single_fwd_len1848_dim1_half_op_CI_CI
    .private_segment_fixed_size: 0
    .sgpr_count:     35
    .sgpr_spill_count: 0
    .symbol:         bluestein_single_fwd_len1848_dim1_half_op_CI_CI.kd
    .uniform_work_group_size: 1
    .uses_dynamic_stack: false
    .vgpr_count:     172
    .vgpr_spill_count: 0
    .wavefront_size: 64
amdhsa.target:   amdgcn-amd-amdhsa--gfx906
amdhsa.version:
  - 1
  - 2
...

	.end_amdgpu_metadata
